;; amdgpu-corpus repo=ROCm/rocFFT kind=compiled arch=gfx1201 opt=O3
	.text
	.amdgcn_target "amdgcn-amd-amdhsa--gfx1201"
	.amdhsa_code_object_version 6
	.protected	bluestein_single_back_len1944_dim1_dp_op_CI_CI ; -- Begin function bluestein_single_back_len1944_dim1_dp_op_CI_CI
	.globl	bluestein_single_back_len1944_dim1_dp_op_CI_CI
	.p2align	8
	.type	bluestein_single_back_len1944_dim1_dp_op_CI_CI,@function
bluestein_single_back_len1944_dim1_dp_op_CI_CI: ; @bluestein_single_back_len1944_dim1_dp_op_CI_CI
; %bb.0:
	s_load_b128 s[8:11], s[0:1], 0x28
	v_mul_u32_u24_e32 v1, 0x10e, v0
	s_mov_b32 s2, exec_lo
	v_mov_b32_e32 v185, 0
	s_delay_alu instid0(VALU_DEP_2) | instskip(NEXT) | instid1(VALU_DEP_1)
	v_lshrrev_b32_e32 v1, 16, v1
	v_add_nc_u32_e32 v184, ttmp9, v1
	s_wait_kmcnt 0x0
	s_delay_alu instid0(VALU_DEP_1)
	v_cmpx_gt_u64_e64 s[8:9], v[184:185]
	s_cbranch_execz .LBB0_47
; %bb.1:
	s_clause 0x1
	s_load_b128 s[4:7], s[0:1], 0x18
	s_load_b64 s[16:17], s[0:1], 0x0
	v_mul_lo_u16 v1, 0xf3, v1
	s_movk_i32 s2, 0xfbe3
	s_mov_b32 s3, -1
	s_delay_alu instid0(VALU_DEP_1) | instskip(NEXT) | instid1(VALU_DEP_1)
	v_sub_nc_u16 v74, v0, v1
	v_and_b32_e32 v188, 0xffff, v74
	s_wait_kmcnt 0x0
	s_load_b128 s[12:15], s[4:5], 0x0
	s_wait_kmcnt 0x0
	v_mad_co_u64_u32 v[4:5], null, s14, v184, 0
	v_mad_co_u64_u32 v[16:17], null, s12, v188, 0
	s_mul_u64 s[4:5], s[12:13], 0x288
	s_mul_u64 s[2:3], s[12:13], s[2:3]
	s_delay_alu instid0(SALU_CYCLE_1) | instskip(NEXT) | instid1(VALU_DEP_1)
	s_lshl_b64 s[2:3], s[2:3], 4
	v_dual_mov_b32 v1, v17 :: v_dual_mov_b32 v0, v5
	v_lshlrev_b32_e32 v187, 4, v188
	s_delay_alu instid0(VALU_DEP_2) | instskip(NEXT) | instid1(VALU_DEP_2)
	v_mad_co_u64_u32 v[2:3], null, s15, v184, v[0:1]
	v_add_co_u32 v185, s12, s16, v187
	s_wait_alu 0xf1ff
	v_add_co_ci_u32_e64 v186, null, s17, 0, s12
	s_delay_alu instid0(VALU_DEP_3)
	v_mad_co_u64_u32 v[6:7], null, s13, v188, v[1:2]
	v_mov_b32_e32 v5, v2
	global_load_b128 v[0:3], v187, s[16:17] offset:10368
	v_lshlrev_b64_e32 v[18:19], 4, v[4:5]
	v_mov_b32_e32 v17, v6
	s_clause 0x2
	global_load_b128 v[4:7], v187, s[16:17] offset:20736
	global_load_b128 v[8:11], v187, s[16:17]
	global_load_b128 v[12:15], v187, s[16:17] offset:3888
	v_lshlrev_b64_e32 v[16:17], 4, v[16:17]
	v_add_co_u32 v18, vcc_lo, s10, v18
	v_add_co_ci_u32_e32 v19, vcc_lo, s11, v19, vcc_lo
	s_lshl_b64 s[10:11], s[4:5], 4
	s_delay_alu instid0(VALU_DEP_2) | instskip(SKIP_1) | instid1(VALU_DEP_2)
	v_add_co_u32 v16, vcc_lo, v18, v16
	s_wait_alu 0xfffd
	v_add_co_ci_u32_e32 v17, vcc_lo, v19, v17, vcc_lo
	s_wait_alu 0xfffe
	s_delay_alu instid0(VALU_DEP_2) | instskip(SKIP_1) | instid1(VALU_DEP_2)
	v_add_co_u32 v18, vcc_lo, v16, s10
	s_wait_alu 0xfffd
	v_add_co_ci_u32_e32 v19, vcc_lo, s11, v17, vcc_lo
	s_clause 0x1
	global_load_b128 v[26:29], v[16:17], off
	global_load_b128 v[30:33], v[18:19], off
	v_add_co_u32 v20, vcc_lo, v18, s10
	s_wait_alu 0xfffd
	v_add_co_ci_u32_e32 v21, vcc_lo, s11, v19, vcc_lo
	s_delay_alu instid0(VALU_DEP_2) | instskip(SKIP_1) | instid1(VALU_DEP_2)
	v_add_co_u32 v22, vcc_lo, v20, s2
	s_wait_alu 0xfffd
	v_add_co_ci_u32_e32 v23, vcc_lo, s3, v21, vcc_lo
	s_clause 0x1
	global_load_b128 v[34:37], v[20:21], off
	global_load_b128 v[38:41], v[22:23], off
	v_add_co_u32 v42, vcc_lo, v22, s10
	s_wait_alu 0xfffd
	v_add_co_ci_u32_e32 v43, vcc_lo, s11, v23, vcc_lo
	s_delay_alu instid0(VALU_DEP_2) | instskip(SKIP_1) | instid1(VALU_DEP_2)
	v_add_co_u32 v24, vcc_lo, v42, s10
	s_wait_alu 0xfffd
	v_add_co_ci_u32_e32 v25, vcc_lo, s11, v43, vcc_lo
	global_load_b128 v[16:19], v187, s[16:17] offset:14256
	global_load_b128 v[42:45], v[42:43], off
	global_load_b128 v[20:23], v187, s[16:17] offset:24624
	global_load_b128 v[46:49], v[24:25], off
	s_load_b64 s[8:9], s[0:1], 0x38
	s_load_b128 s[4:7], s[6:7], 0x0
	v_cmp_gt_u16_e32 vcc_lo, 0xa2, v74
	s_wait_loadcnt 0x7
	v_mul_f64_e32 v[50:51], v[28:29], v[10:11]
	v_mul_f64_e32 v[52:53], v[26:27], v[10:11]
	s_wait_loadcnt 0x6
	v_mul_f64_e32 v[54:55], v[32:33], v[2:3]
	v_mul_f64_e32 v[56:57], v[30:31], v[2:3]
	s_wait_loadcnt 0x5
	v_mul_f64_e32 v[58:59], v[36:37], v[6:7]
	s_wait_loadcnt 0x4
	v_mul_f64_e32 v[60:61], v[40:41], v[14:15]
	v_mul_f64_e32 v[62:63], v[38:39], v[14:15]
	;; [unrolled: 1-line block ×3, first 2 shown]
	s_wait_loadcnt 0x2
	v_mul_f64_e32 v[66:67], v[44:45], v[18:19]
	v_mul_f64_e32 v[68:69], v[42:43], v[18:19]
	s_wait_loadcnt 0x0
	v_mul_f64_e32 v[70:71], v[48:49], v[22:23]
	v_mul_f64_e32 v[72:73], v[46:47], v[22:23]
	v_fma_f64 v[26:27], v[26:27], v[8:9], v[50:51]
	v_fma_f64 v[28:29], v[28:29], v[8:9], -v[52:53]
	v_fma_f64 v[30:31], v[30:31], v[0:1], v[54:55]
	v_fma_f64 v[32:33], v[32:33], v[0:1], -v[56:57]
	v_fma_f64 v[34:35], v[34:35], v[4:5], v[58:59]
	v_fma_f64 v[38:39], v[38:39], v[12:13], v[60:61]
	v_fma_f64 v[40:41], v[40:41], v[12:13], -v[62:63]
	v_fma_f64 v[36:37], v[36:37], v[4:5], -v[64:65]
	ds_store_b128 v187, v[26:29]
	ds_store_b128 v187, v[38:41] offset:3888
	v_fma_f64 v[42:43], v[42:43], v[16:17], v[66:67]
	v_fma_f64 v[44:45], v[44:45], v[16:17], -v[68:69]
	v_fma_f64 v[46:47], v[46:47], v[20:21], v[70:71]
	v_fma_f64 v[48:49], v[48:49], v[20:21], -v[72:73]
	ds_store_b128 v187, v[30:33] offset:10368
	ds_store_b128 v187, v[42:45] offset:14256
	;; [unrolled: 1-line block ×4, first 2 shown]
	s_and_saveexec_b32 s12, vcc_lo
	s_cbranch_execz .LBB0_3
; %bb.2:
	v_add_co_u32 v24, s2, v24, s2
	s_wait_alu 0xf1ff
	v_add_co_ci_u32_e64 v25, s2, s3, v25, s2
	s_delay_alu instid0(VALU_DEP_2) | instskip(SKIP_1) | instid1(VALU_DEP_2)
	v_add_co_u32 v32, s2, v24, s10
	s_wait_alu 0xf1ff
	v_add_co_ci_u32_e64 v33, s2, s11, v25, s2
	global_load_b128 v[24:27], v[24:25], off
	v_add_co_u32 v44, s2, v32, s10
	s_wait_alu 0xf1ff
	v_add_co_ci_u32_e64 v45, s2, s11, v33, s2
	global_load_b128 v[28:31], v[185:186], off offset:7776
	global_load_b128 v[32:35], v[32:33], off
	s_clause 0x1
	global_load_b128 v[36:39], v[185:186], off offset:18144
	global_load_b128 v[40:43], v[185:186], off offset:28512
	global_load_b128 v[44:47], v[44:45], off
	s_wait_loadcnt 0x4
	v_mul_f64_e32 v[48:49], v[26:27], v[30:31]
	v_mul_f64_e32 v[30:31], v[24:25], v[30:31]
	s_wait_loadcnt 0x2
	v_mul_f64_e32 v[50:51], v[34:35], v[38:39]
	v_mul_f64_e32 v[38:39], v[32:33], v[38:39]
	;; [unrolled: 3-line block ×3, first 2 shown]
	v_fma_f64 v[24:25], v[24:25], v[28:29], v[48:49]
	v_fma_f64 v[26:27], v[26:27], v[28:29], -v[30:31]
	v_fma_f64 v[28:29], v[32:33], v[36:37], v[50:51]
	v_fma_f64 v[30:31], v[34:35], v[36:37], -v[38:39]
	;; [unrolled: 2-line block ×3, first 2 shown]
	ds_store_b128 v187, v[24:27] offset:7776
	ds_store_b128 v187, v[28:31] offset:18144
	;; [unrolled: 1-line block ×3, first 2 shown]
.LBB0_3:
	s_wait_alu 0xfffe
	s_or_b32 exec_lo, exec_lo, s12
	global_wb scope:SCOPE_SE
	s_wait_dscnt 0x0
	s_wait_kmcnt 0x0
	s_barrier_signal -1
	s_barrier_wait -1
	global_inv scope:SCOPE_SE
	ds_load_b128 v[36:39], v187
	ds_load_b128 v[32:35], v187 offset:3888
	ds_load_b128 v[48:51], v187 offset:10368
	;; [unrolled: 1-line block ×5, first 2 shown]
                                        ; implicit-def: $vgpr52_vgpr53
                                        ; implicit-def: $vgpr56_vgpr57
                                        ; implicit-def: $vgpr44_vgpr45
	s_and_saveexec_b32 s2, vcc_lo
	s_cbranch_execz .LBB0_5
; %bb.4:
	ds_load_b128 v[44:47], v187 offset:7776
	ds_load_b128 v[52:55], v187 offset:18144
	;; [unrolled: 1-line block ×3, first 2 shown]
.LBB0_5:
	s_wait_alu 0xfffe
	s_or_b32 exec_lo, exec_lo, s2
	s_wait_dscnt 0x1
	v_add_f64_e32 v[62:63], v[50:51], v[30:31]
	s_wait_dscnt 0x0
	v_add_f64_e32 v[64:65], v[40:41], v[24:25]
	v_add_f64_e32 v[66:67], v[42:43], v[26:27]
	;; [unrolled: 1-line block ×6, first 2 shown]
	v_add_f64_e64 v[74:75], v[50:51], -v[30:31]
	v_add_f64_e32 v[50:51], v[38:39], v[50:51]
	v_add_f64_e32 v[78:79], v[34:35], v[42:43]
	;; [unrolled: 1-line block ×4, first 2 shown]
	v_add_f64_e64 v[42:43], v[42:43], -v[26:27]
	v_add_f64_e64 v[54:55], v[54:55], -v[58:59]
	;; [unrolled: 1-line block ×3, first 2 shown]
	v_add_f64_e32 v[76:77], v[32:33], v[40:41]
	s_mov_b32 s2, 0xe8584caa
	s_mov_b32 s3, 0x3febb67a
	;; [unrolled: 1-line block ×3, first 2 shown]
	s_wait_alu 0xfffe
	s_mov_b32 s10, s2
	global_wb scope:SCOPE_SE
	s_barrier_signal -1
	s_barrier_wait -1
	global_inv scope:SCOPE_SE
	v_fma_f64 v[38:39], v[62:63], -0.5, v[38:39]
	v_fma_f64 v[62:63], v[64:65], -0.5, v[32:33]
	v_add_f64_e64 v[64:65], v[40:41], -v[24:25]
	v_fma_f64 v[66:67], v[66:67], -0.5, v[34:35]
	v_fma_f64 v[68:69], v[68:69], -0.5, v[44:45]
	;; [unrolled: 1-line block ×4, first 2 shown]
	v_add_f64_e64 v[60:61], v[48:49], -v[28:29]
	v_add_f64_e32 v[28:29], v[72:73], v[28:29]
	v_add_f64_e32 v[30:31], v[50:51], v[30:31]
	;; [unrolled: 1-line block ×5, first 2 shown]
	v_mul_lo_u16 v56, v188, 3
	v_add_f64_e32 v[24:25], v[76:77], v[24:25]
	s_delay_alu instid0(VALU_DEP_2) | instskip(NEXT) | instid1(VALU_DEP_1)
	v_and_b32_e32 v56, 0xffff, v56
	v_lshlrev_b32_e32 v191, 4, v56
	v_fma_f64 v[40:41], v[42:43], s[2:3], v[62:63]
	s_wait_alu 0xfffe
	v_fma_f64 v[44:45], v[42:43], s[10:11], v[62:63]
	v_fma_f64 v[42:43], v[64:65], s[10:11], v[66:67]
	;; [unrolled: 1-line block ×11, first 2 shown]
	s_load_b64 s[2:3], s[0:1], 0x8
	v_add_co_u32 v132, s0, 0xf3, v188
	s_wait_alu 0xf1ff
	v_add_co_ci_u32_e64 v57, null, 0, 0, s0
	v_add_co_u32 v133, s0, 0x1e6, v188
	s_delay_alu instid0(VALU_DEP_3) | instskip(SKIP_2) | instid1(VALU_DEP_3)
	v_mul_u32_u24_e32 v57, 3, v132
	s_wait_alu 0xf1ff
	v_add_co_ci_u32_e64 v134, null, 0, 0, s0
	v_mul_u32_u24_e32 v190, 3, v133
	s_delay_alu instid0(VALU_DEP_3)
	v_lshlrev_b32_e32 v189, 4, v57
	ds_store_b128 v191, v[28:31]
	ds_store_b128 v191, v[32:35] offset:16
	ds_store_b128 v191, v[36:39] offset:32
	ds_store_b128 v189, v[24:27]
	ds_store_b128 v189, v[40:43] offset:16
	ds_store_b128 v189, v[44:47] offset:32
	s_and_saveexec_b32 s0, vcc_lo
	s_cbranch_execz .LBB0_7
; %bb.6:
	v_lshlrev_b32_e32 v24, 4, v190
	ds_store_b128 v24, v[48:51]
	ds_store_b128 v24, v[52:55] offset:16
	ds_store_b128 v24, v[64:67] offset:32
.LBB0_7:
	s_wait_alu 0xfffe
	s_or_b32 exec_lo, exec_lo, s0
	global_wb scope:SCOPE_SE
	s_wait_dscnt 0x0
	s_wait_kmcnt 0x0
	s_barrier_signal -1
	s_barrier_wait -1
	global_inv scope:SCOPE_SE
	ds_load_b128 v[60:63], v187
	ds_load_b128 v[56:59], v187 offset:3888
	ds_load_b128 v[76:79], v187 offset:10368
	;; [unrolled: 1-line block ×5, first 2 shown]
	s_and_saveexec_b32 s0, vcc_lo
	s_cbranch_execz .LBB0_9
; %bb.8:
	ds_load_b128 v[48:51], v187 offset:7776
	ds_load_b128 v[52:55], v187 offset:18144
	;; [unrolled: 1-line block ×3, first 2 shown]
.LBB0_9:
	s_wait_alu 0xfffe
	s_or_b32 exec_lo, exec_lo, s0
	v_and_b32_e32 v137, 0xffff, v132
	v_and_b32_e32 v135, 0xff, v188
	;; [unrolled: 1-line block ×3, first 2 shown]
	s_mov_b32 s0, 0xe8584caa
	s_mov_b32 s1, 0x3febb67a
	v_mul_u32_u24_e32 v24, 0xaaab, v137
	v_mul_lo_u16 v25, 0xab, v135
	v_mul_u32_u24_e32 v26, 0xaaab, v136
	s_wait_alu 0xfffe
	s_mov_b32 s10, s0
	v_lshrrev_b32_e32 v110, 17, v24
	v_lshrrev_b16 v111, 9, v25
	v_lshrrev_b32_e32 v112, 17, v26
	s_delay_alu instid0(VALU_DEP_3) | instskip(NEXT) | instid1(VALU_DEP_3)
	v_mul_lo_u16 v24, v110, 3
	v_mul_lo_u16 v25, v111, 3
	s_delay_alu instid0(VALU_DEP_3) | instskip(NEXT) | instid1(VALU_DEP_3)
	v_mul_lo_u16 v26, v112, 3
	v_sub_nc_u16 v113, v132, v24
	s_delay_alu instid0(VALU_DEP_3) | instskip(NEXT) | instid1(VALU_DEP_3)
	v_sub_nc_u16 v24, v188, v25
	v_sub_nc_u16 v114, v133, v26
	s_delay_alu instid0(VALU_DEP_3) | instskip(NEXT) | instid1(VALU_DEP_3)
	v_lshlrev_b16 v25, 1, v113
	v_and_b32_e32 v115, 0xff, v24
	s_delay_alu instid0(VALU_DEP_3) | instskip(SKIP_1) | instid1(VALU_DEP_4)
	v_lshlrev_b16 v24, 1, v114
	v_mad_u16 v192, v112, 9, v114
	v_and_b32_e32 v25, 0xffff, v25
	s_delay_alu instid0(VALU_DEP_4) | instskip(NEXT) | instid1(VALU_DEP_4)
	v_lshlrev_b32_e32 v26, 5, v115
	v_and_b32_e32 v24, 0xffff, v24
	s_clause 0x1
	global_load_b128 v[36:39], v26, s[2:3]
	global_load_b128 v[32:35], v26, s[2:3] offset:16
	v_lshlrev_b32_e32 v25, 4, v25
	v_lshlrev_b32_e32 v40, 4, v24
	s_clause 0x3
	global_load_b128 v[28:31], v25, s[2:3]
	global_load_b128 v[24:27], v25, s[2:3] offset:16
	global_load_b128 v[44:47], v40, s[2:3]
	global_load_b128 v[40:43], v40, s[2:3] offset:16
	global_wb scope:SCOPE_SE
	s_wait_loadcnt_dscnt 0x0
	s_barrier_signal -1
	s_barrier_wait -1
	global_inv scope:SCOPE_SE
	v_mul_f64_e32 v[84:85], v[78:79], v[38:39]
	v_mul_f64_e32 v[86:87], v[82:83], v[34:35]
	v_mul_f64_e32 v[88:89], v[76:77], v[38:39]
	v_mul_f64_e32 v[90:91], v[80:81], v[34:35]
	v_mul_f64_e32 v[92:93], v[70:71], v[30:31]
	v_mul_f64_e32 v[94:95], v[74:75], v[26:27]
	v_mul_f64_e32 v[96:97], v[68:69], v[30:31]
	v_mul_f64_e32 v[98:99], v[72:73], v[26:27]
	v_mul_f64_e32 v[100:101], v[54:55], v[46:47]
	v_mul_f64_e32 v[102:103], v[66:67], v[42:43]
	v_mul_f64_e32 v[104:105], v[52:53], v[46:47]
	v_mul_f64_e32 v[106:107], v[64:65], v[42:43]
	v_fma_f64 v[76:77], v[76:77], v[36:37], -v[84:85]
	v_fma_f64 v[80:81], v[80:81], v[32:33], -v[86:87]
	v_fma_f64 v[78:79], v[78:79], v[36:37], v[88:89]
	v_fma_f64 v[82:83], v[82:83], v[32:33], v[90:91]
	v_fma_f64 v[68:69], v[68:69], v[28:29], -v[92:93]
	v_fma_f64 v[72:73], v[72:73], v[24:25], -v[94:95]
	v_fma_f64 v[70:71], v[70:71], v[28:29], v[96:97]
	v_fma_f64 v[74:75], v[74:75], v[24:25], v[98:99]
	;; [unrolled: 4-line block ×3, first 2 shown]
	v_add_f64_e32 v[96:97], v[60:61], v[76:77]
	v_add_f64_e32 v[84:85], v[76:77], v[80:81]
	v_add_f64_e64 v[76:77], v[76:77], -v[80:81]
	v_add_f64_e32 v[86:87], v[78:79], v[82:83]
	v_add_f64_e64 v[98:99], v[78:79], -v[82:83]
	v_add_f64_e32 v[88:89], v[68:69], v[72:73]
	v_add_f64_e32 v[78:79], v[62:63], v[78:79]
	;; [unrolled: 1-line block ×9, first 2 shown]
	v_add_f64_e64 v[70:71], v[70:71], -v[74:75]
	v_add_f64_e64 v[108:109], v[52:53], -v[64:65]
	v_fma_f64 v[60:61], v[84:85], -0.5, v[60:61]
	v_fma_f64 v[62:63], v[86:87], -0.5, v[62:63]
	v_add_f64_e64 v[86:87], v[68:69], -v[72:73]
	v_fma_f64 v[84:85], v[88:89], -0.5, v[56:57]
	v_fma_f64 v[88:89], v[90:91], -0.5, v[58:59]
	v_add_f64_e64 v[90:91], v[54:55], -v[66:67]
	v_fma_f64 v[92:93], v[92:93], -0.5, v[48:49]
	v_add_f64_e32 v[48:49], v[96:97], v[80:81]
	v_fma_f64 v[94:95], v[94:95], -0.5, v[50:51]
	v_add_f64_e32 v[50:51], v[78:79], v[82:83]
	v_add_f64_e32 v[52:53], v[100:101], v[72:73]
	v_add_f64_e32 v[54:55], v[102:103], v[74:75]
	v_add_f64_e32 v[72:73], v[104:105], v[64:65]
	v_add_f64_e32 v[74:75], v[106:107], v[66:67]
	v_and_b32_e32 v80, 0xffff, v111
	v_mad_u16 v81, v110, 9, v113
	s_delay_alu instid0(VALU_DEP_2) | instskip(NEXT) | instid1(VALU_DEP_2)
	v_mul_u32_u24_e32 v80, 9, v80
	v_and_b32_e32 v81, 0xffff, v81
	s_delay_alu instid0(VALU_DEP_2) | instskip(NEXT) | instid1(VALU_DEP_2)
	v_add_lshl_u32 v194, v80, v115, 4
	v_lshlrev_b32_e32 v193, 4, v81
	v_fma_f64 v[56:57], v[98:99], s[0:1], v[60:61]
	s_wait_alu 0xfffe
	v_fma_f64 v[60:61], v[98:99], s[10:11], v[60:61]
	v_fma_f64 v[58:59], v[76:77], s[10:11], v[62:63]
	;; [unrolled: 1-line block ×11, first 2 shown]
	ds_store_b128 v194, v[48:51]
	ds_store_b128 v194, v[56:59] offset:48
	ds_store_b128 v194, v[60:63] offset:96
	ds_store_b128 v193, v[52:55]
	ds_store_b128 v193, v[64:67] offset:48
	ds_store_b128 v193, v[68:71] offset:96
	s_and_saveexec_b32 s0, vcc_lo
	s_cbranch_execz .LBB0_11
; %bb.10:
	v_and_b32_e32 v48, 0xffff, v192
	s_delay_alu instid0(VALU_DEP_1)
	v_lshlrev_b32_e32 v48, 4, v48
	ds_store_b128 v48, v[72:75]
	ds_store_b128 v48, v[76:79] offset:48
	ds_store_b128 v48, v[88:91] offset:96
.LBB0_11:
	s_wait_alu 0xfffe
	s_or_b32 exec_lo, exec_lo, s0
	global_wb scope:SCOPE_SE
	s_wait_dscnt 0x0
	s_barrier_signal -1
	s_barrier_wait -1
	global_inv scope:SCOPE_SE
	ds_load_b128 v[84:87], v187
	ds_load_b128 v[80:83], v187 offset:3888
	ds_load_b128 v[100:103], v187 offset:10368
	ds_load_b128 v[92:95], v187 offset:14256
	ds_load_b128 v[104:107], v187 offset:20736
	ds_load_b128 v[96:99], v187 offset:24624
	s_and_saveexec_b32 s0, vcc_lo
	s_cbranch_execz .LBB0_13
; %bb.12:
	ds_load_b128 v[72:75], v187 offset:7776
	ds_load_b128 v[76:79], v187 offset:18144
	;; [unrolled: 1-line block ×3, first 2 shown]
.LBB0_13:
	s_wait_alu 0xfffe
	s_or_b32 exec_lo, exec_lo, s0
	v_mul_lo_u16 v48, v135, 57
	v_mul_u32_u24_e32 v49, 0xe38f, v137
	v_mul_u32_u24_e32 v50, 0xe38f, v136
	s_delay_alu instid0(VALU_DEP_3) | instskip(NEXT) | instid1(VALU_DEP_3)
	v_lshrrev_b16 v140, 9, v48
	v_lshrrev_b32_e32 v141, 19, v49
	s_delay_alu instid0(VALU_DEP_3) | instskip(NEXT) | instid1(VALU_DEP_3)
	v_lshrrev_b32_e32 v142, 19, v50
	v_mul_lo_u16 v48, v140, 9
	s_delay_alu instid0(VALU_DEP_3) | instskip(NEXT) | instid1(VALU_DEP_3)
	v_mul_lo_u16 v49, v141, 9
	v_mul_lo_u16 v50, v142, 9
	s_delay_alu instid0(VALU_DEP_3) | instskip(NEXT) | instid1(VALU_DEP_3)
	v_sub_nc_u16 v48, v188, v48
	v_sub_nc_u16 v143, v132, v49
	s_delay_alu instid0(VALU_DEP_3) | instskip(NEXT) | instid1(VALU_DEP_3)
	v_sub_nc_u16 v144, v133, v50
	v_and_b32_e32 v145, 0xff, v48
	s_delay_alu instid0(VALU_DEP_3) | instskip(NEXT) | instid1(VALU_DEP_3)
	v_lshlrev_b16 v48, 5, v143
	v_lshlrev_b16 v49, 5, v144
	v_mad_u16 v195, v142, 27, v144
	s_delay_alu instid0(VALU_DEP_4) | instskip(NEXT) | instid1(VALU_DEP_4)
	v_lshlrev_b32_e32 v52, 5, v145
	v_and_b32_e32 v56, 0xffff, v48
	s_delay_alu instid0(VALU_DEP_4)
	v_and_b32_e32 v58, 0xffff, v49
	s_clause 0x1
	global_load_b128 v[48:51], v52, s[2:3] offset:112
	global_load_b128 v[52:55], v52, s[2:3] offset:96
	v_add_co_u32 v56, s0, s2, v56
	s_wait_alu 0xf1ff
	v_add_co_ci_u32_e64 v57, null, s3, 0, s0
	v_add_co_u32 v64, s0, s2, v58
	s_wait_alu 0xf1ff
	v_add_co_ci_u32_e64 v65, null, s3, 0, s0
	s_clause 0x3
	global_load_b128 v[60:63], v[56:57], off offset:96
	global_load_b128 v[56:59], v[56:57], off offset:112
	;; [unrolled: 1-line block ×4, first 2 shown]
	s_mov_b32 s0, 0xe8584caa
	s_mov_b32 s1, 0x3febb67a
	s_wait_alu 0xfffe
	s_mov_b32 s10, s0
	global_wb scope:SCOPE_SE
	s_wait_loadcnt_dscnt 0x0
	s_barrier_signal -1
	s_barrier_wait -1
	global_inv scope:SCOPE_SE
	v_mul_f64_e32 v[110:111], v[106:107], v[50:51]
	v_mul_f64_e32 v[108:109], v[102:103], v[54:55]
	;; [unrolled: 1-line block ×12, first 2 shown]
	v_fma_f64 v[104:105], v[104:105], v[48:49], -v[110:111]
	v_fma_f64 v[100:101], v[100:101], v[52:53], -v[108:109]
	v_fma_f64 v[102:103], v[102:103], v[52:53], v[112:113]
	v_fma_f64 v[106:107], v[106:107], v[48:49], v[114:115]
	v_fma_f64 v[92:93], v[92:93], v[60:61], -v[116:117]
	v_fma_f64 v[96:97], v[96:97], v[56:57], -v[118:119]
	v_fma_f64 v[94:95], v[94:95], v[60:61], v[120:121]
	v_fma_f64 v[98:99], v[98:99], v[56:57], v[122:123]
	;; [unrolled: 4-line block ×3, first 2 shown]
	v_add_f64_e32 v[108:109], v[100:101], v[104:105]
	v_add_f64_e32 v[120:121], v[84:85], v[100:101]
	;; [unrolled: 1-line block ×3, first 2 shown]
	v_add_f64_e64 v[122:123], v[102:103], -v[106:107]
	v_add_f64_e32 v[102:103], v[86:87], v[102:103]
	v_add_f64_e64 v[100:101], v[100:101], -v[104:105]
	v_add_f64_e32 v[124:125], v[80:81], v[92:93]
	v_add_f64_e32 v[112:113], v[92:93], v[96:97]
	;; [unrolled: 1-line block ×8, first 2 shown]
	v_add_f64_e64 v[94:95], v[94:95], -v[98:99]
	v_add_f64_e64 v[138:139], v[76:77], -v[88:89]
	v_fma_f64 v[84:85], v[108:109], -0.5, v[84:85]
	v_fma_f64 v[86:87], v[110:111], -0.5, v[86:87]
	v_add_f64_e64 v[110:111], v[92:93], -v[96:97]
	v_add_f64_e32 v[76:77], v[124:125], v[96:97]
	v_fma_f64 v[108:109], v[112:113], -0.5, v[80:81]
	v_fma_f64 v[112:113], v[114:115], -0.5, v[82:83]
	v_add_f64_e64 v[114:115], v[78:79], -v[90:91]
	v_fma_f64 v[116:117], v[116:117], -0.5, v[72:73]
	v_add_f64_e32 v[72:73], v[120:121], v[104:105]
	v_fma_f64 v[118:119], v[118:119], -0.5, v[74:75]
	v_add_f64_e32 v[74:75], v[102:103], v[106:107]
	v_add_f64_e32 v[78:79], v[126:127], v[98:99]
	;; [unrolled: 1-line block ×4, first 2 shown]
	v_and_b32_e32 v104, 0xffff, v140
	v_mad_u16 v105, v141, 27, v143
	s_delay_alu instid0(VALU_DEP_2) | instskip(NEXT) | instid1(VALU_DEP_2)
	v_mul_u32_u24_e32 v104, 27, v104
	v_and_b32_e32 v105, 0xffff, v105
	s_delay_alu instid0(VALU_DEP_2) | instskip(NEXT) | instid1(VALU_DEP_2)
	v_add_lshl_u32 v197, v104, v145, 4
	v_lshlrev_b32_e32 v196, 4, v105
	v_fma_f64 v[80:81], v[122:123], s[0:1], v[84:85]
	s_wait_alu 0xfffe
	v_fma_f64 v[84:85], v[122:123], s[10:11], v[84:85]
	v_fma_f64 v[82:83], v[100:101], s[10:11], v[86:87]
	;; [unrolled: 1-line block ×11, first 2 shown]
	ds_store_b128 v197, v[72:75]
	ds_store_b128 v197, v[80:83] offset:144
	ds_store_b128 v197, v[84:87] offset:288
	ds_store_b128 v196, v[76:79]
	ds_store_b128 v196, v[88:91] offset:144
	ds_store_b128 v196, v[92:95] offset:288
	s_and_saveexec_b32 s0, vcc_lo
	s_cbranch_execz .LBB0_15
; %bb.14:
	v_and_b32_e32 v72, 0xffff, v195
	s_delay_alu instid0(VALU_DEP_1)
	v_lshlrev_b32_e32 v72, 4, v72
	ds_store_b128 v72, v[96:99]
	ds_store_b128 v72, v[100:103] offset:144
	ds_store_b128 v72, v[108:111] offset:288
.LBB0_15:
	s_wait_alu 0xfffe
	s_or_b32 exec_lo, exec_lo, s0
	global_wb scope:SCOPE_SE
	s_wait_dscnt 0x0
	s_barrier_signal -1
	s_barrier_wait -1
	global_inv scope:SCOPE_SE
	ds_load_b128 v[112:115], v187
	ds_load_b128 v[104:107], v187 offset:3888
	ds_load_b128 v[124:127], v187 offset:10368
	;; [unrolled: 1-line block ×5, first 2 shown]
	s_and_saveexec_b32 s0, vcc_lo
	s_cbranch_execz .LBB0_17
; %bb.16:
	ds_load_b128 v[96:99], v187 offset:7776
	ds_load_b128 v[100:103], v187 offset:18144
	;; [unrolled: 1-line block ×3, first 2 shown]
.LBB0_17:
	s_wait_alu 0xfffe
	s_or_b32 exec_lo, exec_lo, s0
	v_mul_u32_u24_e32 v72, 0x2f69, v137
	v_mul_u32_u24_e32 v73, 0x2f69, v136
	v_mul_lo_u16 v76, v135, 19
	s_delay_alu instid0(VALU_DEP_3) | instskip(NEXT) | instid1(VALU_DEP_3)
	v_lshrrev_b32_e32 v72, 16, v72
	v_lshrrev_b32_e32 v73, 16, v73
	s_delay_alu instid0(VALU_DEP_3) | instskip(NEXT) | instid1(VALU_DEP_3)
	v_lshrrev_b16 v162, 9, v76
	v_sub_nc_u16 v74, v132, v72
	s_delay_alu instid0(VALU_DEP_3) | instskip(NEXT) | instid1(VALU_DEP_2)
	v_sub_nc_u16 v75, v133, v73
	v_lshrrev_b16 v74, 1, v74
	s_delay_alu instid0(VALU_DEP_2) | instskip(NEXT) | instid1(VALU_DEP_2)
	v_lshrrev_b16 v75, 1, v75
	v_add_nc_u16 v72, v74, v72
	s_delay_alu instid0(VALU_DEP_2) | instskip(NEXT) | instid1(VALU_DEP_2)
	v_add_nc_u16 v73, v75, v73
	v_lshrrev_b16 v163, 4, v72
	s_delay_alu instid0(VALU_DEP_2) | instskip(SKIP_1) | instid1(VALU_DEP_3)
	v_lshrrev_b16 v164, 4, v73
	v_mul_lo_u16 v72, v162, 27
	v_mul_lo_u16 v73, v163, 27
	s_delay_alu instid0(VALU_DEP_3) | instskip(NEXT) | instid1(VALU_DEP_3)
	v_mul_lo_u16 v74, v164, 27
	v_sub_nc_u16 v72, v188, v72
	s_delay_alu instid0(VALU_DEP_3) | instskip(NEXT) | instid1(VALU_DEP_3)
	v_sub_nc_u16 v165, v132, v73
	v_sub_nc_u16 v167, v133, v74
	s_delay_alu instid0(VALU_DEP_3) | instskip(NEXT) | instid1(VALU_DEP_3)
	v_and_b32_e32 v166, 0xff, v72
	v_lshlrev_b16 v72, 5, v165
	s_delay_alu instid0(VALU_DEP_3) | instskip(NEXT) | instid1(VALU_DEP_3)
	v_lshlrev_b16 v80, 5, v167
	v_lshlrev_b32_e32 v76, 5, v166
	v_mad_u16 v198, 0x51, v164, v167
	s_delay_alu instid0(VALU_DEP_4) | instskip(NEXT) | instid1(VALU_DEP_4)
	v_and_b32_e32 v81, 0xffff, v72
	v_and_b32_e32 v82, 0xffff, v80
	s_clause 0x1
	global_load_b128 v[72:75], v76, s[2:3] offset:400
	global_load_b128 v[76:79], v76, s[2:3] offset:384
	v_add_co_u32 v80, s0, s2, v81
	s_wait_alu 0xf1ff
	v_add_co_ci_u32_e64 v81, null, s3, 0, s0
	v_add_co_u32 v88, s0, s2, v82
	s_wait_alu 0xf1ff
	v_add_co_ci_u32_e64 v89, null, s3, 0, s0
	s_clause 0x3
	global_load_b128 v[84:87], v[80:81], off offset:384
	global_load_b128 v[80:83], v[80:81], off offset:400
	;; [unrolled: 1-line block ×4, first 2 shown]
	s_mov_b32 s0, 0xe8584caa
	s_mov_b32 s1, 0x3febb67a
	s_wait_alu 0xfffe
	s_mov_b32 s10, s0
	global_wb scope:SCOPE_SE
	s_wait_loadcnt_dscnt 0x0
	s_barrier_signal -1
	s_barrier_wait -1
	global_inv scope:SCOPE_SE
	v_mul_f64_e32 v[140:141], v[130:131], v[74:75]
	v_mul_f64_e32 v[136:137], v[126:127], v[78:79]
	;; [unrolled: 1-line block ×12, first 2 shown]
	v_fma_f64 v[128:129], v[128:129], v[72:73], -v[140:141]
	v_fma_f64 v[124:125], v[124:125], v[76:77], -v[136:137]
	v_fma_f64 v[126:127], v[126:127], v[76:77], v[138:139]
	v_fma_f64 v[130:131], v[130:131], v[72:73], v[142:143]
	v_fma_f64 v[136:137], v[116:117], v[84:85], -v[144:145]
	v_fma_f64 v[138:139], v[118:119], v[84:85], v[146:147]
	v_fma_f64 v[120:121], v[120:121], v[80:81], -v[148:149]
	;; [unrolled: 2-line block ×4, first 2 shown]
	v_fma_f64 v[102:103], v[110:111], v[88:89], v[158:159]
	v_add_f64_e32 v[108:109], v[124:125], v[128:129]
	v_add_f64_e32 v[148:149], v[112:113], v[124:125]
	;; [unrolled: 1-line block ×3, first 2 shown]
	v_add_f64_e64 v[150:151], v[126:127], -v[130:131]
	v_add_f64_e32 v[126:127], v[114:115], v[126:127]
	v_add_f64_e64 v[152:153], v[124:125], -v[128:129]
	v_add_f64_e32 v[124:125], v[104:105], v[136:137]
	v_add_f64_e32 v[154:155], v[106:107], v[138:139]
	v_add_f64_e32 v[140:141], v[136:137], v[120:121]
	v_add_f64_e32 v[142:143], v[138:139], v[122:123]
	v_add_f64_e64 v[138:139], v[138:139], -v[122:123]
	v_add_f64_e64 v[160:161], v[136:137], -v[120:121]
	v_add_f64_e32 v[144:145], v[116:117], v[100:101]
	v_add_f64_e32 v[146:147], v[118:119], v[102:103]
	v_fma_f64 v[156:157], v[108:109], -0.5, v[112:113]
	v_add_f64_e64 v[108:109], v[118:119], -v[102:103]
	v_fma_f64 v[158:159], v[110:111], -0.5, v[114:115]
	v_add_f64_e64 v[110:111], v[116:117], -v[100:101]
	v_add_f64_e32 v[112:113], v[148:149], v[128:129]
	v_add_f64_e32 v[114:115], v[126:127], v[130:131]
	;; [unrolled: 1-line block ×4, first 2 shown]
	v_fma_f64 v[140:141], v[140:141], -0.5, v[104:105]
	v_fma_f64 v[142:143], v[142:143], -0.5, v[106:107]
	;; [unrolled: 1-line block ×4, first 2 shown]
	v_and_b32_e32 v144, 0xffff, v162
	v_mad_u16 v145, 0x51, v163, v165
	s_delay_alu instid0(VALU_DEP_2) | instskip(NEXT) | instid1(VALU_DEP_2)
	v_mul_u32_u24_e32 v144, 0x51, v144
	v_and_b32_e32 v145, 0xffff, v145
	s_delay_alu instid0(VALU_DEP_2) | instskip(NEXT) | instid1(VALU_DEP_2)
	v_add_lshl_u32 v199, v144, v166, 4
	v_lshlrev_b32_e32 v200, 4, v145
	v_fma_f64 v[124:125], v[150:151], s[0:1], v[156:157]
	s_wait_alu 0xfffe
	v_fma_f64 v[128:129], v[150:151], s[10:11], v[156:157]
	v_fma_f64 v[126:127], v[152:153], s[10:11], v[158:159]
	;; [unrolled: 1-line block ×9, first 2 shown]
	ds_store_b128 v199, v[112:115]
	ds_store_b128 v199, v[124:127] offset:432
	ds_store_b128 v199, v[128:131] offset:864
	ds_store_b128 v200, v[120:123]
	ds_store_b128 v200, v[136:139] offset:432
	ds_store_b128 v200, v[140:143] offset:864
	s_and_saveexec_b32 s10, vcc_lo
	s_cbranch_execz .LBB0_19
; %bb.18:
	v_add_f64_e32 v[112:113], v[98:99], v[118:119]
	v_add_f64_e32 v[96:97], v[96:97], v[116:117]
	v_mul_f64_e32 v[110:111], s[0:1], v[110:111]
	v_mul_f64_e32 v[108:109], s[0:1], v[108:109]
	s_delay_alu instid0(VALU_DEP_4) | instskip(NEXT) | instid1(VALU_DEP_4)
	v_add_f64_e32 v[102:103], v[112:113], v[102:103]
	v_add_f64_e32 v[100:101], v[96:97], v[100:101]
	s_delay_alu instid0(VALU_DEP_4) | instskip(NEXT) | instid1(VALU_DEP_4)
	v_add_f64_e64 v[98:99], v[106:107], -v[110:111]
	v_add_f64_e32 v[96:97], v[108:109], v[104:105]
	v_and_b32_e32 v104, 0xffff, v198
	s_delay_alu instid0(VALU_DEP_1)
	v_lshlrev_b32_e32 v104, 4, v104
	ds_store_b128 v104, v[100:103]
	ds_store_b128 v104, v[96:99] offset:432
	ds_store_b128 v104, v[148:151] offset:864
.LBB0_19:
	s_wait_alu 0xfffe
	s_or_b32 exec_lo, exec_lo, s10
	v_mul_lo_u16 v96, 0xcb, v135
	global_wb scope:SCOPE_SE
	s_wait_dscnt 0x0
	s_barrier_signal -1
	s_barrier_wait -1
	global_inv scope:SCOPE_SE
	v_lshrrev_b16 v147, 14, v96
	s_mov_b32 s0, 0x667f3bcd
	s_mov_b32 s1, 0xbfe6a09e
	s_mov_b32 s11, 0x3fe6a09e
	s_wait_alu 0xfffe
	s_mov_b32 s10, s0
	v_mul_lo_u16 v96, 0x51, v147
	v_and_b32_e32 v147, 0xffff, v147
	s_delay_alu instid0(VALU_DEP_2) | instskip(NEXT) | instid1(VALU_DEP_2)
	v_sub_nc_u16 v96, v188, v96
	v_mul_u32_u24_e32 v147, 0x288, v147
	s_delay_alu instid0(VALU_DEP_2) | instskip(NEXT) | instid1(VALU_DEP_1)
	v_and_b32_e32 v205, 0xff, v96
	v_mad_co_u64_u32 v[108:109], null, 0x70, v205, s[2:3]
	s_clause 0x6
	global_load_b128 v[104:107], v[108:109], off offset:1248
	global_load_b128 v[100:103], v[108:109], off offset:1264
	;; [unrolled: 1-line block ×7, first 2 shown]
	ds_load_b128 v[108:111], v187 offset:3888
	ds_load_b128 v[112:115], v187 offset:7776
	ds_load_b128 v[135:138], v187 offset:15552
	ds_load_b128 v[139:142], v187 offset:23328
	ds_load_b128 v[143:146], v187 offset:19440
	ds_load_b128 v[152:155], v187 offset:11664
	ds_load_b128 v[156:159], v187 offset:27216
	s_wait_loadcnt_dscnt 0x606
	v_mul_f64_e32 v[160:161], v[110:111], v[106:107]
	v_mul_f64_e32 v[162:163], v[108:109], v[106:107]
	s_wait_loadcnt_dscnt 0x505
	v_mul_f64_e32 v[164:165], v[114:115], v[102:103]
	v_mul_f64_e32 v[166:167], v[112:113], v[102:103]
	;; [unrolled: 3-line block ×7, first 2 shown]
	v_fma_f64 v[160:161], v[108:109], v[104:105], -v[160:161]
	v_fma_f64 v[162:163], v[110:111], v[104:105], v[162:163]
	v_fma_f64 v[112:113], v[112:113], v[100:101], -v[164:165]
	v_fma_f64 v[114:115], v[114:115], v[100:101], v[166:167]
	;; [unrolled: 2-line block ×7, first 2 shown]
	ds_load_b128 v[108:111], v187
	v_add_lshl_u32 v201, v147, v205, 4
	global_wb scope:SCOPE_SE
	s_wait_dscnt 0x0
	s_barrier_signal -1
	s_barrier_wait -1
	global_inv scope:SCOPE_SE
	v_add_f64_e64 v[135:136], v[108:109], -v[135:136]
	v_add_f64_e64 v[137:138], v[110:111], -v[137:138]
	;; [unrolled: 1-line block ×8, first 2 shown]
	v_fma_f64 v[108:109], v[108:109], 2.0, -v[135:136]
	v_fma_f64 v[110:111], v[110:111], 2.0, -v[137:138]
	v_fma_f64 v[112:113], v[112:113], 2.0, -v[139:140]
	v_fma_f64 v[114:115], v[114:115], 2.0, -v[141:142]
	v_fma_f64 v[160:161], v[160:161], 2.0, -v[143:144]
	v_fma_f64 v[162:163], v[162:163], 2.0, -v[145:146]
	v_add_f64_e32 v[168:169], v[137:138], v[139:140]
	v_add_f64_e64 v[141:142], v[135:136], -v[141:142]
	v_fma_f64 v[139:140], v[152:153], 2.0, -v[156:157]
	v_fma_f64 v[152:153], v[154:155], 2.0, -v[158:159]
	v_add_f64_e64 v[158:159], v[143:144], -v[158:159]
	v_add_f64_e32 v[156:157], v[145:146], v[156:157]
	v_add_f64_e64 v[170:171], v[108:109], -v[112:113]
	v_add_f64_e64 v[172:173], v[110:111], -v[114:115]
	v_fma_f64 v[176:177], v[137:138], 2.0, -v[168:169]
	v_fma_f64 v[174:175], v[135:136], 2.0, -v[141:142]
	v_add_f64_e64 v[112:113], v[160:161], -v[139:140]
	v_add_f64_e64 v[114:115], v[162:163], -v[152:153]
	v_fma_f64 v[135:136], v[143:144], 2.0, -v[158:159]
	v_fma_f64 v[137:138], v[145:146], 2.0, -v[156:157]
	s_wait_alu 0xfffe
	v_fma_f64 v[139:140], v[158:159], s[10:11], v[141:142]
	v_fma_f64 v[143:144], v[156:157], s[10:11], v[168:169]
	v_fma_f64 v[145:146], v[108:109], 2.0, -v[170:171]
	v_fma_f64 v[178:179], v[110:111], 2.0, -v[172:173]
	;; [unrolled: 1-line block ×4, first 2 shown]
	v_fma_f64 v[160:161], v[135:136], s[0:1], v[174:175]
	v_fma_f64 v[162:163], v[137:138], s[0:1], v[176:177]
	v_add_f64_e64 v[152:153], v[170:171], -v[114:115]
	v_add_f64_e32 v[154:155], v[172:173], v[112:113]
	v_fma_f64 v[164:165], v[156:157], s[0:1], v[139:140]
	v_fma_f64 v[166:167], v[158:159], s[10:11], v[143:144]
	v_add_f64_e64 v[108:109], v[145:146], -v[108:109]
	v_add_f64_e64 v[110:111], v[178:179], -v[110:111]
	v_fma_f64 v[112:113], v[137:138], s[0:1], v[160:161]
	v_fma_f64 v[114:115], v[135:136], s[10:11], v[162:163]
	v_fma_f64 v[135:136], v[170:171], 2.0, -v[152:153]
	v_fma_f64 v[137:138], v[172:173], 2.0, -v[154:155]
	;; [unrolled: 1-line block ×8, first 2 shown]
	ds_store_b128 v201, v[152:155] offset:7776
	ds_store_b128 v201, v[164:167] offset:9072
	;; [unrolled: 1-line block ×6, first 2 shown]
	ds_store_b128 v201, v[143:146]
	ds_store_b128 v201, v[156:159] offset:1296
	global_wb scope:SCOPE_SE
	s_wait_dscnt 0x0
	s_barrier_signal -1
	s_barrier_wait -1
	global_inv scope:SCOPE_SE
	ds_load_b128 v[160:163], v187
	ds_load_b128 v[156:159], v187 offset:3888
	ds_load_b128 v[176:179], v187 offset:10368
	;; [unrolled: 1-line block ×5, first 2 shown]
	s_and_saveexec_b32 s0, vcc_lo
	s_cbranch_execz .LBB0_21
; %bb.20:
	ds_load_b128 v[152:155], v187 offset:7776
	ds_load_b128 v[164:167], v187 offset:18144
	ds_load_b128 v[148:151], v187 offset:28512
.LBB0_21:
	s_wait_alu 0xfffe
	s_or_b32 exec_lo, exec_lo, s0
	v_add_co_u32 v108, s0, 0xffffff5e, v188
	s_wait_alu 0xf1ff
	v_add_co_ci_u32_e64 v109, null, 0, -1, s0
	v_lshlrev_b32_e32 v110, 5, v188
	s_delay_alu instid0(VALU_DEP_3) | instskip(NEXT) | instid1(VALU_DEP_3)
	v_dual_cndmask_b32 v108, v108, v133 :: v_dual_lshlrev_b32 v111, 5, v132
	v_cndmask_b32_e32 v109, v109, v134, vcc_lo
	s_clause 0x1
	global_load_b128 v[132:135], v110, s[2:3] offset:10336
	global_load_b128 v[144:147], v110, s[2:3] offset:10320
	v_lshlrev_b64_e32 v[108:109], 5, v[108:109]
	s_delay_alu instid0(VALU_DEP_1) | instskip(SKIP_1) | instid1(VALU_DEP_2)
	v_add_co_u32 v108, s0, s2, v108
	s_wait_alu 0xf1ff
	v_add_co_ci_u32_e64 v109, s0, s3, v109, s0
	s_mov_b32 s0, 0xe8584caa
	s_clause 0x3
	global_load_b128 v[140:143], v111, s[2:3] offset:10320
	global_load_b128 v[136:139], v111, s[2:3] offset:10336
	global_load_b128 v[112:115], v[108:109], off offset:10320
	global_load_b128 v[108:111], v[108:109], off offset:10336
	s_mov_b32 s1, 0x3febb67a
	s_mov_b32 s3, 0xbfebb67a
	s_wait_alu 0xfffe
	s_mov_b32 s2, s0
	s_wait_loadcnt_dscnt 0x501
	v_mul_f64_e32 v[208:209], v[180:181], v[134:135]
	s_wait_loadcnt 0x4
	v_mul_f64_e32 v[206:207], v[176:177], v[146:147]
	v_mul_f64_e32 v[202:203], v[178:179], v[146:147]
	;; [unrolled: 1-line block ×3, first 2 shown]
	s_wait_loadcnt 0x3
	v_mul_f64_e32 v[210:211], v[170:171], v[142:143]
	s_wait_loadcnt_dscnt 0x200
	v_mul_f64_e32 v[212:213], v[174:175], v[138:139]
	v_mul_f64_e32 v[214:215], v[168:169], v[142:143]
	v_mul_f64_e32 v[216:217], v[172:173], v[138:139]
	s_wait_loadcnt 0x1
	v_mul_f64_e32 v[218:219], v[166:167], v[114:115]
	s_wait_loadcnt 0x0
	v_mul_f64_e32 v[220:221], v[150:151], v[110:111]
	v_mul_f64_e32 v[222:223], v[164:165], v[114:115]
	;; [unrolled: 1-line block ×3, first 2 shown]
	v_fma_f64 v[182:183], v[182:183], v[132:133], v[208:209]
	v_fma_f64 v[178:179], v[178:179], v[144:145], v[206:207]
	v_fma_f64 v[176:177], v[176:177], v[144:145], -v[202:203]
	v_fma_f64 v[180:181], v[180:181], v[132:133], -v[204:205]
	;; [unrolled: 1-line block ×4, first 2 shown]
	v_fma_f64 v[170:171], v[170:171], v[140:141], v[214:215]
	v_fma_f64 v[174:175], v[174:175], v[136:137], v[216:217]
	v_fma_f64 v[164:165], v[164:165], v[112:113], -v[218:219]
	v_fma_f64 v[148:149], v[148:149], v[108:109], -v[220:221]
	v_fma_f64 v[166:167], v[166:167], v[112:113], v[222:223]
	v_fma_f64 v[150:151], v[150:151], v[108:109], v[224:225]
	v_add_f64_e32 v[204:205], v[178:179], v[182:183]
	v_add_f64_e32 v[214:215], v[160:161], v[176:177]
	;; [unrolled: 1-line block ×3, first 2 shown]
	v_add_f64_e64 v[216:217], v[178:179], -v[182:183]
	v_add_f64_e32 v[178:179], v[162:163], v[178:179]
	v_add_f64_e64 v[176:177], v[176:177], -v[180:181]
	v_add_f64_e32 v[218:219], v[156:157], v[168:169]
	v_add_f64_e32 v[206:207], v[168:169], v[172:173]
	v_add_f64_e32 v[220:221], v[158:159], v[170:171]
	v_add_f64_e32 v[208:209], v[170:171], v[174:175]
	v_add_f64_e32 v[222:223], v[152:153], v[164:165]
	v_add_f64_e32 v[210:211], v[164:165], v[148:149]
	v_add_f64_e32 v[224:225], v[154:155], v[166:167]
	v_add_f64_e32 v[212:213], v[166:167], v[150:151]
	v_add_f64_e64 v[226:227], v[170:171], -v[174:175]
	v_add_f64_e64 v[228:229], v[164:165], -v[148:149]
	v_fma_f64 v[204:205], v[204:205], -0.5, v[162:163]
	v_fma_f64 v[202:203], v[202:203], -0.5, v[160:161]
	v_add_f64_e32 v[160:161], v[214:215], v[180:181]
	v_add_f64_e32 v[162:163], v[178:179], v[182:183]
	;; [unrolled: 1-line block ×3, first 2 shown]
	v_fma_f64 v[156:157], v[206:207], -0.5, v[156:157]
	v_add_f64_e64 v[206:207], v[168:169], -v[172:173]
	v_fma_f64 v[158:159], v[208:209], -0.5, v[158:159]
	v_add_f64_e64 v[208:209], v[166:167], -v[150:151]
	v_fma_f64 v[210:211], v[210:211], -0.5, v[152:153]
	v_add_f64_e32 v[166:167], v[220:221], v[174:175]
	v_fma_f64 v[212:213], v[212:213], -0.5, v[154:155]
	v_add_f64_e32 v[148:149], v[222:223], v[148:149]
	v_add_f64_e32 v[150:151], v[224:225], v[150:151]
	s_wait_alu 0xfffe
	v_fma_f64 v[170:171], v[176:177], s[2:3], v[204:205]
	v_fma_f64 v[174:175], v[176:177], s[0:1], v[204:205]
	;; [unrolled: 1-line block ×12, first 2 shown]
	ds_store_b128 v187, v[160:163]
	ds_store_b128 v187, v[164:167] offset:3888
	ds_store_b128 v187, v[168:171] offset:10368
	;; [unrolled: 1-line block ×5, first 2 shown]
	s_and_saveexec_b32 s0, vcc_lo
	s_cbranch_execz .LBB0_23
; %bb.22:
	ds_store_b128 v187, v[148:151] offset:7776
	ds_store_b128 v187, v[152:155] offset:18144
	;; [unrolled: 1-line block ×3, first 2 shown]
.LBB0_23:
	s_wait_alu 0xfffe
	s_or_b32 exec_lo, exec_lo, s0
	s_add_nc_u64 s[0:1], s[16:17], 0x7980
	global_wb scope:SCOPE_SE
	s_wait_dscnt 0x0
	s_barrier_signal -1
	s_barrier_wait -1
	global_inv scope:SCOPE_SE
	s_clause 0x5
	global_load_b128 v[160:163], v[185:186], off offset:31104
	global_load_b128 v[164:167], v187, s[0:1] offset:10368
	global_load_b128 v[168:171], v187, s[0:1] offset:20736
	;; [unrolled: 1-line block ×5, first 2 shown]
	ds_load_b128 v[202:205], v187
	ds_load_b128 v[206:209], v187 offset:10368
	ds_load_b128 v[210:213], v187 offset:20736
	ds_load_b128 v[214:217], v187 offset:3888
	ds_load_b128 v[218:221], v187 offset:14256
	ds_load_b128 v[222:225], v187 offset:24624
	s_wait_loadcnt_dscnt 0x505
	v_mul_f64_e32 v[226:227], v[204:205], v[162:163]
	v_mul_f64_e32 v[162:163], v[202:203], v[162:163]
	s_wait_loadcnt_dscnt 0x404
	v_mul_f64_e32 v[228:229], v[208:209], v[166:167]
	v_mul_f64_e32 v[166:167], v[206:207], v[166:167]
	;; [unrolled: 3-line block ×6, first 2 shown]
	v_fma_f64 v[202:203], v[202:203], v[160:161], -v[226:227]
	v_fma_f64 v[204:205], v[204:205], v[160:161], v[162:163]
	v_fma_f64 v[160:161], v[206:207], v[164:165], -v[228:229]
	v_fma_f64 v[162:163], v[208:209], v[164:165], v[166:167]
	;; [unrolled: 2-line block ×6, first 2 shown]
	ds_store_b128 v187, v[202:205]
	ds_store_b128 v187, v[168:171] offset:3888
	ds_store_b128 v187, v[160:163] offset:10368
	;; [unrolled: 1-line block ×5, first 2 shown]
	s_and_saveexec_b32 s2, vcc_lo
	s_cbranch_execz .LBB0_25
; %bb.24:
	s_wait_alu 0xfffe
	v_add_co_u32 v168, s0, s0, v187
	s_wait_alu 0xf1ff
	v_add_co_ci_u32_e64 v169, null, s1, 0, s0
	s_clause 0x2
	global_load_b128 v[160:163], v[168:169], off offset:7776
	global_load_b128 v[164:167], v[168:169], off offset:18144
	;; [unrolled: 1-line block ×3, first 2 shown]
	ds_load_b128 v[172:175], v187 offset:7776
	ds_load_b128 v[176:179], v187 offset:18144
	ds_load_b128 v[180:183], v187 offset:28512
	s_wait_loadcnt_dscnt 0x202
	v_mul_f64_e32 v[202:203], v[174:175], v[162:163]
	v_mul_f64_e32 v[162:163], v[172:173], v[162:163]
	s_wait_loadcnt_dscnt 0x101
	v_mul_f64_e32 v[204:205], v[178:179], v[166:167]
	v_mul_f64_e32 v[166:167], v[176:177], v[166:167]
	;; [unrolled: 3-line block ×3, first 2 shown]
	v_fma_f64 v[170:171], v[172:173], v[160:161], -v[202:203]
	v_fma_f64 v[172:173], v[174:175], v[160:161], v[162:163]
	v_fma_f64 v[160:161], v[176:177], v[164:165], -v[204:205]
	v_fma_f64 v[162:163], v[178:179], v[164:165], v[166:167]
	;; [unrolled: 2-line block ×3, first 2 shown]
	ds_store_b128 v187, v[170:173] offset:7776
	ds_store_b128 v187, v[160:163] offset:18144
	;; [unrolled: 1-line block ×3, first 2 shown]
.LBB0_25:
	s_wait_alu 0xfffe
	s_or_b32 exec_lo, exec_lo, s2
	global_wb scope:SCOPE_SE
	s_wait_dscnt 0x0
	s_barrier_signal -1
	s_barrier_wait -1
	global_inv scope:SCOPE_SE
	ds_load_b128 v[172:175], v187
	ds_load_b128 v[168:171], v187 offset:3888
	ds_load_b128 v[180:183], v187 offset:10368
	;; [unrolled: 1-line block ×5, first 2 shown]
	s_and_saveexec_b32 s0, vcc_lo
	s_cbranch_execz .LBB0_27
; %bb.26:
	ds_load_b128 v[148:151], v187 offset:7776
	ds_load_b128 v[152:155], v187 offset:18144
	;; [unrolled: 1-line block ×3, first 2 shown]
.LBB0_27:
	s_wait_alu 0xfffe
	s_or_b32 exec_lo, exec_lo, s0
	s_wait_dscnt 0x1
	v_add_f64_e32 v[202:203], v[180:181], v[164:165]
	s_wait_dscnt 0x0
	v_add_f64_e32 v[206:207], v[176:177], v[160:161]
	v_add_f64_e32 v[208:209], v[178:179], v[162:163]
	;; [unrolled: 1-line block ×6, first 2 shown]
	v_add_f64_e64 v[216:217], v[182:183], -v[166:167]
	v_add_f64_e32 v[182:183], v[174:175], v[182:183]
	v_add_f64_e32 v[218:219], v[168:169], v[176:177]
	;; [unrolled: 1-line block ×5, first 2 shown]
	v_add_f64_e64 v[226:227], v[152:153], -v[156:157]
	v_add_f64_e64 v[180:181], v[180:181], -v[164:165]
	;; [unrolled: 1-line block ×3, first 2 shown]
	s_mov_b32 s0, 0xe8584caa
	s_mov_b32 s1, 0xbfebb67a
	;; [unrolled: 1-line block ×3, first 2 shown]
	s_wait_alu 0xfffe
	s_mov_b32 s2, s0
	global_wb scope:SCOPE_SE
	s_barrier_signal -1
	s_barrier_wait -1
	global_inv scope:SCOPE_SE
	v_fma_f64 v[172:173], v[202:203], -0.5, v[172:173]
	v_fma_f64 v[202:203], v[206:207], -0.5, v[168:169]
	;; [unrolled: 1-line block ×3, first 2 shown]
	v_add_f64_e64 v[208:209], v[154:155], -v[158:159]
	v_fma_f64 v[210:211], v[210:211], -0.5, v[148:149]
	v_fma_f64 v[212:213], v[212:213], -0.5, v[150:151]
	;; [unrolled: 1-line block ×3, first 2 shown]
	v_add_f64_e64 v[204:205], v[176:177], -v[160:161]
	v_add_f64_e32 v[152:153], v[214:215], v[164:165]
	v_add_f64_e32 v[154:155], v[182:183], v[166:167]
	;; [unrolled: 1-line block ×6, first 2 shown]
	v_fma_f64 v[156:157], v[216:217], s[0:1], v[172:173]
	s_wait_alu 0xfffe
	v_fma_f64 v[172:173], v[216:217], s[2:3], v[172:173]
	v_fma_f64 v[176:177], v[178:179], s[0:1], v[202:203]
	;; [unrolled: 1-line block ×11, first 2 shown]
	ds_store_b128 v191, v[152:155]
	ds_store_b128 v191, v[156:159] offset:16
	ds_store_b128 v191, v[172:175] offset:32
	ds_store_b128 v189, v[168:171]
	ds_store_b128 v189, v[176:179] offset:16
	ds_store_b128 v189, v[180:183] offset:32
	s_and_saveexec_b32 s0, vcc_lo
	s_cbranch_execz .LBB0_29
; %bb.28:
	v_lshlrev_b32_e32 v152, 4, v190
	ds_store_b128 v152, v[148:151]
	ds_store_b128 v152, v[160:163] offset:16
	ds_store_b128 v152, v[164:167] offset:32
.LBB0_29:
	s_wait_alu 0xfffe
	s_or_b32 exec_lo, exec_lo, s0
	global_wb scope:SCOPE_SE
	s_wait_dscnt 0x0
	s_barrier_signal -1
	s_barrier_wait -1
	global_inv scope:SCOPE_SE
	ds_load_b128 v[156:159], v187
	ds_load_b128 v[152:155], v187 offset:3888
	ds_load_b128 v[176:179], v187 offset:10368
	;; [unrolled: 1-line block ×5, first 2 shown]
	s_and_saveexec_b32 s0, vcc_lo
	s_cbranch_execz .LBB0_31
; %bb.30:
	ds_load_b128 v[148:151], v187 offset:7776
	ds_load_b128 v[160:163], v187 offset:18144
	;; [unrolled: 1-line block ×3, first 2 shown]
.LBB0_31:
	s_wait_alu 0xfffe
	s_or_b32 exec_lo, exec_lo, s0
	s_wait_dscnt 0x3
	v_mul_f64_e32 v[189:190], v[38:39], v[178:179]
	s_wait_dscnt 0x1
	v_mul_f64_e32 v[202:203], v[34:35], v[182:183]
	v_mul_f64_e32 v[38:39], v[38:39], v[176:177]
	;; [unrolled: 1-line block ×4, first 2 shown]
	s_wait_dscnt 0x0
	v_mul_f64_e32 v[206:207], v[26:27], v[174:175]
	v_mul_f64_e32 v[30:31], v[30:31], v[168:169]
	;; [unrolled: 1-line block ×7, first 2 shown]
	s_mov_b32 s0, 0xe8584caa
	s_mov_b32 s1, 0xbfebb67a
	s_wait_alu 0xfffe
	s_mov_b32 s2, s0
	global_wb scope:SCOPE_SE
	s_barrier_signal -1
	s_barrier_wait -1
	global_inv scope:SCOPE_SE
	v_fma_f64 v[176:177], v[36:37], v[176:177], v[189:190]
	v_fma_f64 v[180:181], v[32:33], v[180:181], v[202:203]
	v_fma_f64 v[36:37], v[36:37], v[178:179], -v[38:39]
	v_fma_f64 v[32:33], v[32:33], v[182:183], -v[34:35]
	v_fma_f64 v[34:35], v[28:29], v[168:169], v[204:205]
	v_fma_f64 v[38:39], v[24:25], v[172:173], v[206:207]
	v_fma_f64 v[28:29], v[28:29], v[170:171], -v[30:31]
	v_fma_f64 v[24:25], v[24:25], v[174:175], -v[26:27]
	;; [unrolled: 4-line block ×3, first 2 shown]
	v_add_f64_e32 v[168:169], v[156:157], v[176:177]
	v_add_f64_e32 v[42:43], v[176:177], v[180:181]
	v_add_f64_e32 v[44:45], v[36:37], v[32:33]
	v_add_f64_e64 v[170:171], v[36:37], -v[32:33]
	v_add_f64_e32 v[46:47], v[34:35], v[38:39]
	v_add_f64_e32 v[36:37], v[158:159], v[36:37]
	;; [unrolled: 1-line block ×9, first 2 shown]
	v_add_f64_e64 v[204:205], v[30:31], -v[40:41]
	v_add_f64_e64 v[206:207], v[26:27], -v[160:161]
	;; [unrolled: 1-line block ×3, first 2 shown]
	v_fma_f64 v[42:43], v[42:43], -0.5, v[156:157]
	v_add_f64_e64 v[156:157], v[176:177], -v[180:181]
	v_fma_f64 v[158:159], v[44:45], -0.5, v[158:159]
	v_add_f64_e64 v[176:177], v[28:29], -v[24:25]
	v_fma_f64 v[189:190], v[46:47], -0.5, v[152:153]
	v_add_f64_e32 v[28:29], v[168:169], v[180:181]
	v_fma_f64 v[162:163], v[162:163], -0.5, v[154:155]
	v_add_f64_e32 v[30:31], v[36:37], v[32:33]
	v_fma_f64 v[164:165], v[164:165], -0.5, v[148:149]
	v_add_f64_e32 v[32:33], v[172:173], v[38:39]
	v_fma_f64 v[166:167], v[166:167], -0.5, v[150:151]
	v_add_f64_e32 v[34:35], v[174:175], v[24:25]
	v_add_f64_e32 v[24:25], v[178:179], v[160:161]
	v_add_f64_e32 v[26:27], v[40:41], v[182:183]
	v_fma_f64 v[44:45], v[170:171], s[0:1], v[42:43]
	s_wait_alu 0xfffe
	v_fma_f64 v[148:149], v[170:171], s[2:3], v[42:43]
	v_fma_f64 v[46:47], v[156:157], s[2:3], v[158:159]
	;; [unrolled: 1-line block ×11, first 2 shown]
	ds_store_b128 v194, v[28:31]
	ds_store_b128 v194, v[44:47] offset:48
	ds_store_b128 v194, v[148:151] offset:96
	ds_store_b128 v193, v[32:35]
	ds_store_b128 v193, v[152:155] offset:48
	ds_store_b128 v193, v[156:159] offset:96
	s_and_saveexec_b32 s0, vcc_lo
	s_cbranch_execz .LBB0_33
; %bb.32:
	v_and_b32_e32 v28, 0xffff, v192
	s_delay_alu instid0(VALU_DEP_1)
	v_lshlrev_b32_e32 v28, 4, v28
	ds_store_b128 v28, v[24:27]
	ds_store_b128 v28, v[36:39] offset:48
	ds_store_b128 v28, v[40:43] offset:96
.LBB0_33:
	s_wait_alu 0xfffe
	s_or_b32 exec_lo, exec_lo, s0
	global_wb scope:SCOPE_SE
	s_wait_dscnt 0x0
	s_barrier_signal -1
	s_barrier_wait -1
	global_inv scope:SCOPE_SE
	ds_load_b128 v[32:35], v187
	ds_load_b128 v[28:31], v187 offset:3888
	ds_load_b128 v[152:155], v187 offset:10368
	;; [unrolled: 1-line block ×5, first 2 shown]
	s_and_saveexec_b32 s0, vcc_lo
	s_cbranch_execz .LBB0_35
; %bb.34:
	ds_load_b128 v[24:27], v187 offset:7776
	ds_load_b128 v[36:39], v187 offset:18144
	;; [unrolled: 1-line block ×3, first 2 shown]
.LBB0_35:
	s_wait_alu 0xfffe
	s_or_b32 exec_lo, exec_lo, s0
	s_wait_dscnt 0x1
	v_mul_f64_e32 v[168:169], v[70:71], v[38:39]
	s_wait_dscnt 0x0
	v_mul_f64_e32 v[170:171], v[66:67], v[42:43]
	v_mul_f64_e32 v[70:71], v[70:71], v[36:37]
	;; [unrolled: 1-line block ×11, first 2 shown]
	s_mov_b32 s0, 0xe8584caa
	s_mov_b32 s1, 0xbfebb67a
	s_wait_alu 0xfffe
	s_mov_b32 s2, s0
	global_wb scope:SCOPE_SE
	s_barrier_signal -1
	s_barrier_wait -1
	global_inv scope:SCOPE_SE
	v_fma_f64 v[36:37], v[68:69], v[36:37], v[168:169]
	v_fma_f64 v[40:41], v[64:65], v[40:41], v[170:171]
	v_fma_f64 v[38:39], v[68:69], v[38:39], -v[70:71]
	v_fma_f64 v[42:43], v[64:65], v[42:43], -v[66:67]
	v_fma_f64 v[152:153], v[52:53], v[152:153], v[160:161]
	v_fma_f64 v[156:157], v[48:49], v[156:157], v[162:163]
	v_fma_f64 v[52:53], v[52:53], v[154:155], -v[54:55]
	v_fma_f64 v[48:49], v[48:49], v[158:159], -v[50:51]
	;; [unrolled: 4-line block ×3, first 2 shown]
	v_add_f64_e32 v[154:155], v[36:37], v[24:25]
	v_add_f64_e32 v[64:65], v[36:37], v[40:41]
	;; [unrolled: 1-line block ×6, first 2 shown]
	v_add_f64_e64 v[38:39], v[38:39], -v[42:43]
	v_add_f64_e32 v[58:59], v[52:53], v[48:49]
	v_add_f64_e64 v[70:71], v[52:53], -v[48:49]
	v_add_f64_e32 v[60:61], v[44:45], v[50:51]
	v_add_f64_e32 v[52:53], v[34:35], v[52:53]
	;; [unrolled: 1-line block ×3, first 2 shown]
	v_add_f64_e64 v[164:165], v[36:37], -v[40:41]
	v_add_f64_e64 v[152:153], v[152:153], -v[156:157]
	v_add_f64_e32 v[148:149], v[28:29], v[44:45]
	v_add_f64_e32 v[150:151], v[30:31], v[46:47]
	v_add_f64_e64 v[160:161], v[46:47], -v[54:55]
	v_add_f64_e64 v[162:163], v[44:45], -v[50:51]
	v_fma_f64 v[64:65], v[64:65], -0.5, v[24:25]
	v_fma_f64 v[66:67], v[66:67], -0.5, v[26:27]
	v_add_f64_e32 v[24:25], v[68:69], v[156:157]
	v_fma_f64 v[56:57], v[56:57], -0.5, v[32:33]
	v_fma_f64 v[58:59], v[58:59], -0.5, v[34:35]
	;; [unrolled: 1-line block ×3, first 2 shown]
	v_add_f64_e32 v[26:27], v[52:53], v[48:49]
	v_fma_f64 v[62:63], v[62:63], -0.5, v[30:31]
	v_add_f64_e32 v[28:29], v[154:155], v[40:41]
	v_add_f64_e32 v[30:31], v[42:43], v[158:159]
	;; [unrolled: 1-line block ×4, first 2 shown]
	v_fma_f64 v[36:37], v[38:39], s[0:1], v[64:65]
	s_wait_alu 0xfffe
	v_fma_f64 v[40:41], v[38:39], s[2:3], v[64:65]
	v_fma_f64 v[38:39], v[164:165], s[2:3], v[66:67]
	;; [unrolled: 1-line block ×11, first 2 shown]
	ds_store_b128 v197, v[24:27]
	ds_store_b128 v197, v[44:47] offset:144
	ds_store_b128 v197, v[48:51] offset:288
	ds_store_b128 v196, v[32:35]
	ds_store_b128 v196, v[52:55] offset:144
	ds_store_b128 v196, v[56:59] offset:288
	s_and_saveexec_b32 s0, vcc_lo
	s_cbranch_execz .LBB0_37
; %bb.36:
	v_and_b32_e32 v24, 0xffff, v195
	s_delay_alu instid0(VALU_DEP_1)
	v_lshlrev_b32_e32 v24, 4, v24
	ds_store_b128 v24, v[28:31]
	ds_store_b128 v24, v[36:39] offset:144
	ds_store_b128 v24, v[40:43] offset:288
.LBB0_37:
	s_wait_alu 0xfffe
	s_or_b32 exec_lo, exec_lo, s0
	global_wb scope:SCOPE_SE
	s_wait_dscnt 0x0
	s_barrier_signal -1
	s_barrier_wait -1
	global_inv scope:SCOPE_SE
	ds_load_b128 v[32:35], v187
	ds_load_b128 v[24:27], v187 offset:3888
	ds_load_b128 v[52:55], v187 offset:10368
	;; [unrolled: 1-line block ×5, first 2 shown]
	s_and_saveexec_b32 s0, vcc_lo
	s_cbranch_execz .LBB0_39
; %bb.38:
	ds_load_b128 v[28:31], v187 offset:7776
	ds_load_b128 v[36:39], v187 offset:18144
	;; [unrolled: 1-line block ×3, first 2 shown]
.LBB0_39:
	s_wait_alu 0xfffe
	s_or_b32 exec_lo, exec_lo, s0
	s_wait_dscnt 0x3
	v_mul_f64_e32 v[60:61], v[78:79], v[54:55]
	v_mul_f64_e32 v[62:63], v[78:79], v[52:53]
	s_wait_dscnt 0x1
	v_mul_f64_e32 v[64:65], v[74:75], v[58:59]
	v_mul_f64_e32 v[66:67], v[74:75], v[56:57]
	;; [unrolled: 1-line block ×4, first 2 shown]
	s_wait_dscnt 0x0
	v_mul_f64_e32 v[74:75], v[82:83], v[50:51]
	v_mul_f64_e32 v[78:79], v[82:83], v[48:49]
	;; [unrolled: 1-line block ×6, first 2 shown]
	s_mov_b32 s2, 0xe8584caa
	s_mov_b32 s3, 0xbfebb67a
	;; [unrolled: 1-line block ×3, first 2 shown]
	s_wait_alu 0xfffe
	s_mov_b32 s0, s2
	global_wb scope:SCOPE_SE
	s_barrier_signal -1
	s_barrier_wait -1
	global_inv scope:SCOPE_SE
	v_fma_f64 v[52:53], v[76:77], v[52:53], v[60:61]
	v_fma_f64 v[54:55], v[76:77], v[54:55], -v[62:63]
	v_fma_f64 v[56:57], v[72:73], v[56:57], v[64:65]
	v_fma_f64 v[58:59], v[72:73], v[58:59], -v[66:67]
	;; [unrolled: 2-line block ×6, first 2 shown]
	v_add_f64_e32 v[72:73], v[32:33], v[52:53]
	v_add_f64_e32 v[40:41], v[52:53], v[56:57]
	;; [unrolled: 1-line block ×3, first 2 shown]
	v_add_f64_e64 v[74:75], v[54:55], -v[58:59]
	v_add_f64_e32 v[54:55], v[34:35], v[54:55]
	v_add_f64_e32 v[48:49], v[60:61], v[64:65]
	;; [unrolled: 1-line block ×3, first 2 shown]
	v_add_f64_e64 v[76:77], v[52:53], -v[56:57]
	v_add_f64_e32 v[52:53], v[24:25], v[60:61]
	v_add_f64_e32 v[68:69], v[44:45], v[36:37]
	;; [unrolled: 1-line block ×4, first 2 shown]
	v_add_f64_e64 v[82:83], v[62:63], -v[66:67]
	v_add_f64_e64 v[84:85], v[60:61], -v[64:65]
	v_fma_f64 v[80:81], v[40:41], -0.5, v[32:33]
	v_fma_f64 v[62:63], v[42:43], -0.5, v[34:35]
	v_add_f64_e64 v[34:35], v[46:47], -v[38:39]
	v_add_f64_e64 v[42:43], v[44:45], -v[36:37]
	v_fma_f64 v[24:25], v[48:49], -0.5, v[24:25]
	v_fma_f64 v[26:27], v[50:51], -0.5, v[26:27]
	v_add_f64_e32 v[48:49], v[72:73], v[56:57]
	v_add_f64_e32 v[50:51], v[54:55], v[58:59]
	v_fma_f64 v[32:33], v[68:69], -0.5, v[28:29]
	v_fma_f64 v[40:41], v[70:71], -0.5, v[30:31]
	v_add_f64_e32 v[52:53], v[52:53], v[64:65]
	v_add_f64_e32 v[54:55], v[78:79], v[66:67]
	v_fma_f64 v[56:57], v[74:75], s[2:3], v[80:81]
	s_wait_alu 0xfffe
	v_fma_f64 v[58:59], v[76:77], s[0:1], v[62:63]
	v_fma_f64 v[60:61], v[74:75], s[0:1], v[80:81]
	;; [unrolled: 1-line block ×9, first 2 shown]
	ds_store_b128 v199, v[48:51]
	ds_store_b128 v199, v[56:59] offset:432
	ds_store_b128 v199, v[60:63] offset:864
	ds_store_b128 v200, v[52:55]
	ds_store_b128 v200, v[64:67] offset:432
	ds_store_b128 v200, v[68:71] offset:864
	s_and_saveexec_b32 s2, vcc_lo
	s_cbranch_execz .LBB0_41
; %bb.40:
	v_add_f64_e32 v[46:47], v[46:47], v[30:31]
	v_add_f64_e32 v[28:29], v[44:45], v[28:29]
	v_mul_f64_e32 v[42:43], s[0:1], v[42:43]
	v_mul_f64_e32 v[34:35], s[0:1], v[34:35]
	s_delay_alu instid0(VALU_DEP_4) | instskip(NEXT) | instid1(VALU_DEP_4)
	v_add_f64_e32 v[38:39], v[38:39], v[46:47]
	v_add_f64_e32 v[36:37], v[28:29], v[36:37]
	s_delay_alu instid0(VALU_DEP_4) | instskip(NEXT) | instid1(VALU_DEP_4)
	v_add_f64_e32 v[30:31], v[42:43], v[40:41]
	v_add_f64_e64 v[28:29], v[32:33], -v[34:35]
	v_and_b32_e32 v32, 0xffff, v198
	s_delay_alu instid0(VALU_DEP_1)
	v_lshlrev_b32_e32 v32, 4, v32
	ds_store_b128 v32, v[36:39]
	ds_store_b128 v32, v[28:31] offset:432
	ds_store_b128 v32, v[24:27] offset:864
.LBB0_41:
	s_wait_alu 0xfffe
	s_or_b32 exec_lo, exec_lo, s2
	global_wb scope:SCOPE_SE
	s_wait_dscnt 0x0
	s_barrier_signal -1
	s_barrier_wait -1
	global_inv scope:SCOPE_SE
	ds_load_b128 v[28:31], v187 offset:3888
	ds_load_b128 v[32:35], v187 offset:7776
	;; [unrolled: 1-line block ×7, first 2 shown]
	s_mov_b32 s0, 0x667f3bcd
	s_mov_b32 s1, 0xbfe6a09e
	;; [unrolled: 1-line block ×3, first 2 shown]
	s_wait_alu 0xfffe
	s_mov_b32 s2, s0
	s_wait_dscnt 0x6
	v_mul_f64_e32 v[56:57], v[106:107], v[30:31]
	v_mul_f64_e32 v[58:59], v[106:107], v[28:29]
	s_wait_dscnt 0x5
	v_mul_f64_e32 v[60:61], v[102:103], v[34:35]
	v_mul_f64_e32 v[62:63], v[102:103], v[32:33]
	s_wait_dscnt 0x4
	v_mul_f64_e32 v[64:65], v[98:99], v[38:39]
	v_mul_f64_e32 v[66:67], v[98:99], v[36:37]
	s_wait_dscnt 0x3
	v_mul_f64_e32 v[68:69], v[118:119], v[42:43]
	v_mul_f64_e32 v[70:71], v[118:119], v[40:41]
	s_wait_dscnt 0x2
	v_mul_f64_e32 v[72:73], v[130:131], v[46:47]
	v_mul_f64_e32 v[74:75], v[130:131], v[44:45]
	s_wait_dscnt 0x1
	v_mul_f64_e32 v[76:77], v[126:127], v[50:51]
	v_mul_f64_e32 v[78:79], v[126:127], v[48:49]
	s_wait_dscnt 0x0
	v_mul_f64_e32 v[80:81], v[122:123], v[54:55]
	v_mul_f64_e32 v[82:83], v[122:123], v[52:53]
	v_fma_f64 v[56:57], v[104:105], v[28:29], v[56:57]
	v_fma_f64 v[58:59], v[104:105], v[30:31], -v[58:59]
	v_fma_f64 v[32:33], v[100:101], v[32:33], v[60:61]
	v_fma_f64 v[34:35], v[100:101], v[34:35], -v[62:63]
	v_fma_f64 v[36:37], v[96:97], v[36:37], v[64:65]
	v_fma_f64 v[38:39], v[96:97], v[38:39], -v[66:67]
	v_fma_f64 v[40:41], v[116:117], v[40:41], v[68:69]
	v_fma_f64 v[42:43], v[116:117], v[42:43], -v[70:71]
	v_fma_f64 v[44:45], v[128:129], v[44:45], v[72:73]
	v_fma_f64 v[46:47], v[128:129], v[46:47], -v[74:75]
	v_fma_f64 v[48:49], v[124:125], v[48:49], v[76:77]
	v_fma_f64 v[50:51], v[124:125], v[50:51], -v[78:79]
	v_fma_f64 v[52:53], v[120:121], v[52:53], v[80:81]
	v_fma_f64 v[54:55], v[120:121], v[54:55], -v[82:83]
	ds_load_b128 v[28:31], v187
	global_wb scope:SCOPE_SE
	s_wait_dscnt 0x0
	s_barrier_signal -1
	s_barrier_wait -1
	global_inv scope:SCOPE_SE
	v_add_f64_e64 v[36:37], v[28:29], -v[36:37]
	v_add_f64_e64 v[38:39], v[30:31], -v[38:39]
	v_add_f64_e64 v[40:41], v[32:33], -v[40:41]
	v_add_f64_e64 v[42:43], v[34:35], -v[42:43]
	v_add_f64_e64 v[44:45], v[56:57], -v[44:45]
	v_add_f64_e64 v[46:47], v[58:59], -v[46:47]
	v_add_f64_e64 v[52:53], v[48:49], -v[52:53]
	v_add_f64_e64 v[54:55], v[50:51], -v[54:55]
	v_fma_f64 v[28:29], v[28:29], 2.0, -v[36:37]
	v_fma_f64 v[30:31], v[30:31], 2.0, -v[38:39]
	;; [unrolled: 1-line block ×6, first 2 shown]
	v_add_f64_e32 v[60:61], v[36:37], v[42:43]
	v_add_f64_e64 v[62:63], v[38:39], -v[40:41]
	v_fma_f64 v[40:41], v[48:49], 2.0, -v[52:53]
	v_fma_f64 v[42:43], v[50:51], 2.0, -v[54:55]
	v_add_f64_e32 v[48:49], v[44:45], v[54:55]
	v_add_f64_e64 v[50:51], v[46:47], -v[52:53]
	v_add_f64_e64 v[52:53], v[28:29], -v[32:33]
	;; [unrolled: 1-line block ×3, first 2 shown]
	v_fma_f64 v[64:65], v[36:37], 2.0, -v[60:61]
	v_fma_f64 v[66:67], v[38:39], 2.0, -v[62:63]
	v_add_f64_e64 v[32:33], v[56:57], -v[40:41]
	v_add_f64_e64 v[34:35], v[58:59], -v[42:43]
	v_fma_f64 v[42:43], v[44:45], 2.0, -v[48:49]
	v_fma_f64 v[40:41], v[46:47], 2.0, -v[50:51]
	s_wait_alu 0xfffe
	v_fma_f64 v[36:37], v[48:49], s[2:3], v[60:61]
	v_fma_f64 v[38:39], v[50:51], s[2:3], v[62:63]
	v_fma_f64 v[68:69], v[28:29], 2.0, -v[52:53]
	v_fma_f64 v[70:71], v[30:31], 2.0, -v[54:55]
	;; [unrolled: 1-line block ×4, first 2 shown]
	v_fma_f64 v[56:57], v[42:43], s[0:1], v[64:65]
	v_fma_f64 v[58:59], v[40:41], s[0:1], v[66:67]
	v_add_f64_e32 v[28:29], v[52:53], v[34:35]
	v_add_f64_e64 v[30:31], v[54:55], -v[32:33]
	v_fma_f64 v[32:33], v[50:51], s[2:3], v[36:37]
	v_fma_f64 v[34:35], v[48:49], s[0:1], v[38:39]
	v_add_f64_e64 v[36:37], v[68:69], -v[44:45]
	v_add_f64_e64 v[38:39], v[70:71], -v[46:47]
	v_fma_f64 v[40:41], v[40:41], s[2:3], v[56:57]
	v_fma_f64 v[42:43], v[42:43], s[0:1], v[58:59]
	v_fma_f64 v[44:45], v[52:53], 2.0, -v[28:29]
	v_fma_f64 v[46:47], v[54:55], 2.0, -v[30:31]
	;; [unrolled: 1-line block ×8, first 2 shown]
	ds_store_b128 v201, v[28:31] offset:7776
	ds_store_b128 v201, v[32:35] offset:9072
	;; [unrolled: 1-line block ×6, first 2 shown]
	ds_store_b128 v201, v[52:55]
	ds_store_b128 v201, v[56:59] offset:1296
	global_wb scope:SCOPE_SE
	s_wait_dscnt 0x0
	s_barrier_signal -1
	s_barrier_wait -1
	global_inv scope:SCOPE_SE
	ds_load_b128 v[40:43], v187
	ds_load_b128 v[36:39], v187 offset:3888
	ds_load_b128 v[52:55], v187 offset:10368
	;; [unrolled: 1-line block ×5, first 2 shown]
	s_and_saveexec_b32 s0, vcc_lo
	s_cbranch_execz .LBB0_43
; %bb.42:
	ds_load_b128 v[28:31], v187 offset:7776
	ds_load_b128 v[32:35], v187 offset:18144
	;; [unrolled: 1-line block ×3, first 2 shown]
.LBB0_43:
	s_wait_alu 0xfffe
	s_or_b32 exec_lo, exec_lo, s0
	s_wait_dscnt 0x3
	v_mul_f64_e32 v[60:61], v[146:147], v[54:55]
	v_mul_f64_e32 v[62:63], v[146:147], v[52:53]
	s_wait_dscnt 0x1
	v_mul_f64_e32 v[64:65], v[134:135], v[58:59]
	v_mul_f64_e32 v[66:67], v[134:135], v[56:57]
	;; [unrolled: 1-line block ×4, first 2 shown]
	s_wait_dscnt 0x0
	v_mul_f64_e32 v[72:73], v[138:139], v[50:51]
	v_mul_f64_e32 v[74:75], v[138:139], v[48:49]
	s_mov_b32 s0, 0xe8584caa
	s_mov_b32 s1, 0xbfebb67a
	;; [unrolled: 1-line block ×3, first 2 shown]
	s_wait_alu 0xfffe
	s_mov_b32 s2, s0
	v_fma_f64 v[52:53], v[144:145], v[52:53], v[60:61]
	v_fma_f64 v[54:55], v[144:145], v[54:55], -v[62:63]
	v_fma_f64 v[56:57], v[132:133], v[56:57], v[64:65]
	v_fma_f64 v[58:59], v[132:133], v[58:59], -v[66:67]
	;; [unrolled: 2-line block ×4, first 2 shown]
	v_add_f64_e32 v[68:69], v[40:41], v[52:53]
	v_add_f64_e32 v[60:61], v[52:53], v[56:57]
	;; [unrolled: 1-line block ×3, first 2 shown]
	v_add_f64_e64 v[70:71], v[54:55], -v[58:59]
	v_add_f64_e32 v[54:55], v[42:43], v[54:55]
	v_add_f64_e32 v[64:65], v[44:45], v[48:49]
	;; [unrolled: 1-line block ×5, first 2 shown]
	v_add_f64_e64 v[52:53], v[52:53], -v[56:57]
	v_add_f64_e64 v[76:77], v[46:47], -v[50:51]
	;; [unrolled: 1-line block ×3, first 2 shown]
	v_fma_f64 v[60:61], v[60:61], -0.5, v[40:41]
	v_fma_f64 v[62:63], v[62:63], -0.5, v[42:43]
	;; [unrolled: 1-line block ×4, first 2 shown]
	v_add_f64_e32 v[36:37], v[68:69], v[56:57]
	v_add_f64_e32 v[38:39], v[54:55], v[58:59]
	;; [unrolled: 1-line block ×4, first 2 shown]
	v_fma_f64 v[44:45], v[70:71], s[0:1], v[60:61]
	s_wait_alu 0xfffe
	v_fma_f64 v[46:47], v[52:53], s[2:3], v[62:63]
	v_fma_f64 v[50:51], v[52:53], s[0:1], v[62:63]
	;; [unrolled: 1-line block ×7, first 2 shown]
	ds_store_b128 v187, v[36:39]
	ds_store_b128 v187, v[40:43] offset:3888
	ds_store_b128 v187, v[44:47] offset:10368
	;; [unrolled: 1-line block ×5, first 2 shown]
	s_and_saveexec_b32 s10, vcc_lo
	s_cbranch_execz .LBB0_45
; %bb.44:
	v_mul_f64_e32 v[36:37], v[114:115], v[32:33]
	v_mul_f64_e32 v[38:39], v[110:111], v[24:25]
	v_mul_f64_e32 v[40:41], v[114:115], v[34:35]
	v_mul_f64_e32 v[42:43], v[110:111], v[26:27]
	s_delay_alu instid0(VALU_DEP_4) | instskip(NEXT) | instid1(VALU_DEP_4)
	v_fma_f64 v[34:35], v[112:113], v[34:35], -v[36:37]
	v_fma_f64 v[26:27], v[108:109], v[26:27], -v[38:39]
	s_delay_alu instid0(VALU_DEP_4) | instskip(NEXT) | instid1(VALU_DEP_4)
	v_fma_f64 v[32:33], v[112:113], v[32:33], v[40:41]
	v_fma_f64 v[24:25], v[108:109], v[24:25], v[42:43]
	s_delay_alu instid0(VALU_DEP_4) | instskip(NEXT) | instid1(VALU_DEP_4)
	v_add_f64_e32 v[42:43], v[34:35], v[30:31]
	v_add_f64_e32 v[36:37], v[34:35], v[26:27]
	v_add_f64_e64 v[44:45], v[34:35], -v[26:27]
	s_delay_alu instid0(VALU_DEP_4)
	v_add_f64_e32 v[38:39], v[32:33], v[24:25]
	v_add_f64_e64 v[40:41], v[32:33], -v[24:25]
	v_add_f64_e32 v[32:33], v[32:33], v[28:29]
	v_add_f64_e32 v[26:27], v[26:27], v[42:43]
	v_fma_f64 v[36:37], v[36:37], -0.5, v[30:31]
	v_fma_f64 v[28:29], v[38:39], -0.5, v[28:29]
	s_delay_alu instid0(VALU_DEP_4) | instskip(NEXT) | instid1(VALU_DEP_3)
	v_add_f64_e32 v[24:25], v[32:33], v[24:25]
	v_fma_f64 v[34:35], v[40:41], s[2:3], v[36:37]
	v_fma_f64 v[30:31], v[40:41], s[0:1], v[36:37]
	s_delay_alu instid0(VALU_DEP_4)
	v_fma_f64 v[32:33], v[44:45], s[0:1], v[28:29]
	v_fma_f64 v[28:29], v[44:45], s[2:3], v[28:29]
	ds_store_b128 v187, v[24:27] offset:7776
	ds_store_b128 v187, v[32:35] offset:18144
	;; [unrolled: 1-line block ×3, first 2 shown]
.LBB0_45:
	s_wait_alu 0xfffe
	s_or_b32 exec_lo, exec_lo, s10
	global_wb scope:SCOPE_SE
	s_wait_dscnt 0x0
	s_barrier_signal -1
	s_barrier_wait -1
	global_inv scope:SCOPE_SE
	ds_load_b128 v[24:27], v187
	ds_load_b128 v[28:31], v187 offset:10368
	ds_load_b128 v[32:35], v187 offset:20736
	;; [unrolled: 1-line block ×5, first 2 shown]
	v_mad_co_u64_u32 v[60:61], null, s6, v184, 0
	s_mov_b32 s2, 0xa88f4696
	s_mov_b32 s3, 0x3f40db20
	s_wait_dscnt 0x5
	v_mul_f64_e32 v[48:49], v[10:11], v[26:27]
	v_mul_f64_e32 v[10:11], v[10:11], v[24:25]
	s_wait_dscnt 0x4
	v_mul_f64_e32 v[50:51], v[2:3], v[30:31]
	v_mul_f64_e32 v[2:3], v[2:3], v[28:29]
	;; [unrolled: 3-line block ×6, first 2 shown]
	v_fma_f64 v[24:25], v[8:9], v[24:25], v[48:49]
	v_fma_f64 v[8:9], v[8:9], v[26:27], -v[10:11]
	v_fma_f64 v[10:11], v[0:1], v[28:29], v[50:51]
	v_fma_f64 v[0:1], v[0:1], v[30:31], -v[2:3]
	;; [unrolled: 2-line block ×6, first 2 shown]
	v_mov_b32_e32 v4, v61
	v_mad_co_u64_u32 v[2:3], null, s4, v188, 0
	s_delay_alu instid0(VALU_DEP_2) | instskip(SKIP_3) | instid1(VALU_DEP_1)
	v_mad_co_u64_u32 v[4:5], null, s7, v184, v[4:5]
	s_mul_u64 s[6:7], s[4:5], 0x288
	s_wait_alu 0xfffe
	s_lshl_b64 s[6:7], s[6:7], 4
	v_mad_co_u64_u32 v[5:6], null, s5, v188, v[3:4]
	v_mov_b32_e32 v61, v4
	s_delay_alu instid0(VALU_DEP_1) | instskip(NEXT) | instid1(VALU_DEP_3)
	v_lshlrev_b64_e32 v[42:43], 4, v[60:61]
	v_mov_b32_e32 v3, v5
	s_delay_alu instid0(VALU_DEP_1)
	v_lshlrev_b64_e32 v[44:45], 4, v[2:3]
	v_mul_f64_e32 v[2:3], s[2:3], v[24:25]
	v_mul_f64_e32 v[4:5], s[2:3], v[8:9]
	;; [unrolled: 1-line block ×4, first 2 shown]
	v_add_co_u32 v0, s0, s8, v42
	v_mul_f64_e32 v[10:11], s[2:3], v[26:27]
	v_mul_f64_e32 v[12:13], s[2:3], v[28:29]
	;; [unrolled: 1-line block ×4, first 2 shown]
	s_wait_alu 0xf1ff
	v_add_co_ci_u32_e64 v1, s0, s9, v43, s0
	v_mul_f64_e32 v[18:19], s[2:3], v[34:35]
	v_mul_f64_e32 v[20:21], s[2:3], v[36:37]
	;; [unrolled: 1-line block ×4, first 2 shown]
	v_add_co_u32 v26, s0, v0, v44
	s_wait_alu 0xf1ff
	v_add_co_ci_u32_e64 v27, s0, v1, v45, s0
	s_movk_i32 s8, 0xfbe3
	s_wait_alu 0xfffe
	v_add_co_u32 v28, s0, v26, s6
	s_wait_alu 0xf1ff
	v_add_co_ci_u32_e64 v29, s0, s7, v27, s0
	s_mov_b32 s9, -1
	s_delay_alu instid0(VALU_DEP_2)
	v_add_co_u32 v30, s0, v28, s6
	s_wait_alu 0xfffe
	s_mul_u64 s[4:5], s[4:5], s[8:9]
	v_add_co_ci_u32_e64 v31, s0, s7, v29, s0
	s_wait_alu 0xfffe
	s_lshl_b64 s[4:5], s[4:5], 4
	s_wait_alu 0xfffe
	v_add_co_u32 v32, s0, v30, s4
	s_wait_alu 0xf1ff
	v_add_co_ci_u32_e64 v33, s0, s5, v31, s0
	s_delay_alu instid0(VALU_DEP_2) | instskip(SKIP_1) | instid1(VALU_DEP_2)
	v_add_co_u32 v34, s0, v32, s6
	s_wait_alu 0xf1ff
	v_add_co_ci_u32_e64 v35, s0, s7, v33, s0
	s_delay_alu instid0(VALU_DEP_2) | instskip(SKIP_1) | instid1(VALU_DEP_2)
	v_add_co_u32 v0, s0, v34, s6
	s_wait_alu 0xf1ff
	v_add_co_ci_u32_e64 v1, s0, s7, v35, s0
	s_clause 0x4
	global_store_b128 v[26:27], v[2:5], off
	global_store_b128 v[28:29], v[6:9], off
	;; [unrolled: 1-line block ×6, first 2 shown]
	s_and_b32 exec_lo, exec_lo, vcc_lo
	s_cbranch_execz .LBB0_47
; %bb.46:
	s_clause 0x2
	global_load_b128 v[2:5], v[185:186], off offset:7776
	global_load_b128 v[6:9], v[185:186], off offset:18144
	;; [unrolled: 1-line block ×3, first 2 shown]
	ds_load_b128 v[14:17], v187 offset:7776
	ds_load_b128 v[18:21], v187 offset:18144
	;; [unrolled: 1-line block ×3, first 2 shown]
	v_add_co_u32 v0, vcc_lo, v0, s4
	s_wait_alu 0xfffd
	v_add_co_ci_u32_e32 v1, vcc_lo, s5, v1, vcc_lo
	s_wait_loadcnt_dscnt 0x202
	v_mul_f64_e32 v[26:27], v[16:17], v[4:5]
	v_mul_f64_e32 v[4:5], v[14:15], v[4:5]
	s_wait_loadcnt_dscnt 0x101
	v_mul_f64_e32 v[28:29], v[20:21], v[8:9]
	v_mul_f64_e32 v[8:9], v[18:19], v[8:9]
	;; [unrolled: 3-line block ×3, first 2 shown]
	v_fma_f64 v[14:15], v[14:15], v[2:3], v[26:27]
	v_fma_f64 v[4:5], v[2:3], v[16:17], -v[4:5]
	v_fma_f64 v[16:17], v[18:19], v[6:7], v[28:29]
	v_fma_f64 v[8:9], v[6:7], v[20:21], -v[8:9]
	;; [unrolled: 2-line block ×3, first 2 shown]
	v_mul_f64_e32 v[2:3], s[2:3], v[14:15]
	v_mul_f64_e32 v[4:5], s[2:3], v[4:5]
	;; [unrolled: 1-line block ×6, first 2 shown]
	v_add_co_u32 v14, vcc_lo, v0, s6
	s_wait_alu 0xfffd
	v_add_co_ci_u32_e32 v15, vcc_lo, s7, v1, vcc_lo
	s_delay_alu instid0(VALU_DEP_2) | instskip(SKIP_1) | instid1(VALU_DEP_2)
	v_add_co_u32 v16, vcc_lo, v14, s6
	s_wait_alu 0xfffd
	v_add_co_ci_u32_e32 v17, vcc_lo, s7, v15, vcc_lo
	global_store_b128 v[0:1], v[2:5], off
	global_store_b128 v[14:15], v[6:9], off
	;; [unrolled: 1-line block ×3, first 2 shown]
.LBB0_47:
	s_nop 0
	s_sendmsg sendmsg(MSG_DEALLOC_VGPRS)
	s_endpgm
	.section	.rodata,"a",@progbits
	.p2align	6, 0x0
	.amdhsa_kernel bluestein_single_back_len1944_dim1_dp_op_CI_CI
		.amdhsa_group_segment_fixed_size 31104
		.amdhsa_private_segment_fixed_size 0
		.amdhsa_kernarg_size 104
		.amdhsa_user_sgpr_count 2
		.amdhsa_user_sgpr_dispatch_ptr 0
		.amdhsa_user_sgpr_queue_ptr 0
		.amdhsa_user_sgpr_kernarg_segment_ptr 1
		.amdhsa_user_sgpr_dispatch_id 0
		.amdhsa_user_sgpr_private_segment_size 0
		.amdhsa_wavefront_size32 1
		.amdhsa_uses_dynamic_stack 0
		.amdhsa_enable_private_segment 0
		.amdhsa_system_sgpr_workgroup_id_x 1
		.amdhsa_system_sgpr_workgroup_id_y 0
		.amdhsa_system_sgpr_workgroup_id_z 0
		.amdhsa_system_sgpr_workgroup_info 0
		.amdhsa_system_vgpr_workitem_id 0
		.amdhsa_next_free_vgpr 238
		.amdhsa_next_free_sgpr 18
		.amdhsa_reserve_vcc 1
		.amdhsa_float_round_mode_32 0
		.amdhsa_float_round_mode_16_64 0
		.amdhsa_float_denorm_mode_32 3
		.amdhsa_float_denorm_mode_16_64 3
		.amdhsa_fp16_overflow 0
		.amdhsa_workgroup_processor_mode 1
		.amdhsa_memory_ordered 1
		.amdhsa_forward_progress 0
		.amdhsa_round_robin_scheduling 0
		.amdhsa_exception_fp_ieee_invalid_op 0
		.amdhsa_exception_fp_denorm_src 0
		.amdhsa_exception_fp_ieee_div_zero 0
		.amdhsa_exception_fp_ieee_overflow 0
		.amdhsa_exception_fp_ieee_underflow 0
		.amdhsa_exception_fp_ieee_inexact 0
		.amdhsa_exception_int_div_zero 0
	.end_amdhsa_kernel
	.text
.Lfunc_end0:
	.size	bluestein_single_back_len1944_dim1_dp_op_CI_CI, .Lfunc_end0-bluestein_single_back_len1944_dim1_dp_op_CI_CI
                                        ; -- End function
	.section	.AMDGPU.csdata,"",@progbits
; Kernel info:
; codeLenInByte = 12504
; NumSgprs: 20
; NumVgprs: 238
; ScratchSize: 0
; MemoryBound: 0
; FloatMode: 240
; IeeeMode: 1
; LDSByteSize: 31104 bytes/workgroup (compile time only)
; SGPRBlocks: 2
; VGPRBlocks: 29
; NumSGPRsForWavesPerEU: 20
; NumVGPRsForWavesPerEU: 238
; Occupancy: 6
; WaveLimiterHint : 1
; COMPUTE_PGM_RSRC2:SCRATCH_EN: 0
; COMPUTE_PGM_RSRC2:USER_SGPR: 2
; COMPUTE_PGM_RSRC2:TRAP_HANDLER: 0
; COMPUTE_PGM_RSRC2:TGID_X_EN: 1
; COMPUTE_PGM_RSRC2:TGID_Y_EN: 0
; COMPUTE_PGM_RSRC2:TGID_Z_EN: 0
; COMPUTE_PGM_RSRC2:TIDIG_COMP_CNT: 0
	.text
	.p2alignl 7, 3214868480
	.fill 96, 4, 3214868480
	.type	__hip_cuid_7f29dfd5dd71c1a6,@object ; @__hip_cuid_7f29dfd5dd71c1a6
	.section	.bss,"aw",@nobits
	.globl	__hip_cuid_7f29dfd5dd71c1a6
__hip_cuid_7f29dfd5dd71c1a6:
	.byte	0                               ; 0x0
	.size	__hip_cuid_7f29dfd5dd71c1a6, 1

	.ident	"AMD clang version 19.0.0git (https://github.com/RadeonOpenCompute/llvm-project roc-6.4.0 25133 c7fe45cf4b819c5991fe208aaa96edf142730f1d)"
	.section	".note.GNU-stack","",@progbits
	.addrsig
	.addrsig_sym __hip_cuid_7f29dfd5dd71c1a6
	.amdgpu_metadata
---
amdhsa.kernels:
  - .args:
      - .actual_access:  read_only
        .address_space:  global
        .offset:         0
        .size:           8
        .value_kind:     global_buffer
      - .actual_access:  read_only
        .address_space:  global
        .offset:         8
        .size:           8
        .value_kind:     global_buffer
      - .actual_access:  read_only
        .address_space:  global
        .offset:         16
        .size:           8
        .value_kind:     global_buffer
      - .actual_access:  read_only
        .address_space:  global
        .offset:         24
        .size:           8
        .value_kind:     global_buffer
      - .actual_access:  read_only
        .address_space:  global
        .offset:         32
        .size:           8
        .value_kind:     global_buffer
      - .offset:         40
        .size:           8
        .value_kind:     by_value
      - .address_space:  global
        .offset:         48
        .size:           8
        .value_kind:     global_buffer
      - .address_space:  global
        .offset:         56
        .size:           8
        .value_kind:     global_buffer
      - .address_space:  global
        .offset:         64
        .size:           8
        .value_kind:     global_buffer
      - .address_space:  global
        .offset:         72
        .size:           8
        .value_kind:     global_buffer
      - .offset:         80
        .size:           4
        .value_kind:     by_value
      - .address_space:  global
        .offset:         88
        .size:           8
        .value_kind:     global_buffer
      - .address_space:  global
        .offset:         96
        .size:           8
        .value_kind:     global_buffer
    .group_segment_fixed_size: 31104
    .kernarg_segment_align: 8
    .kernarg_segment_size: 104
    .language:       OpenCL C
    .language_version:
      - 2
      - 0
    .max_flat_workgroup_size: 243
    .name:           bluestein_single_back_len1944_dim1_dp_op_CI_CI
    .private_segment_fixed_size: 0
    .sgpr_count:     20
    .sgpr_spill_count: 0
    .symbol:         bluestein_single_back_len1944_dim1_dp_op_CI_CI.kd
    .uniform_work_group_size: 1
    .uses_dynamic_stack: false
    .vgpr_count:     238
    .vgpr_spill_count: 0
    .wavefront_size: 32
    .workgroup_processor_mode: 1
amdhsa.target:   amdgcn-amd-amdhsa--gfx1201
amdhsa.version:
  - 1
  - 2
...

	.end_amdgpu_metadata
